;; amdgpu-corpus repo=ROCm/rocFFT kind=compiled arch=gfx1100 opt=O3
	.text
	.amdgcn_target "amdgcn-amd-amdhsa--gfx1100"
	.amdhsa_code_object_version 6
	.protected	fft_rtc_fwd_len1925_factors_7_11_5_5_wgs_55_tpt_55_halfLds_sp_op_CI_CI_sbrr_dirReg ; -- Begin function fft_rtc_fwd_len1925_factors_7_11_5_5_wgs_55_tpt_55_halfLds_sp_op_CI_CI_sbrr_dirReg
	.globl	fft_rtc_fwd_len1925_factors_7_11_5_5_wgs_55_tpt_55_halfLds_sp_op_CI_CI_sbrr_dirReg
	.p2align	8
	.type	fft_rtc_fwd_len1925_factors_7_11_5_5_wgs_55_tpt_55_halfLds_sp_op_CI_CI_sbrr_dirReg,@function
fft_rtc_fwd_len1925_factors_7_11_5_5_wgs_55_tpt_55_halfLds_sp_op_CI_CI_sbrr_dirReg: ; @fft_rtc_fwd_len1925_factors_7_11_5_5_wgs_55_tpt_55_halfLds_sp_op_CI_CI_sbrr_dirReg
; %bb.0:
	s_clause 0x2
	s_load_b128 s[16:19], s[0:1], 0x18
	s_load_b128 s[8:11], s[0:1], 0x0
	;; [unrolled: 1-line block ×3, first 2 shown]
	v_mul_u32_u24_e32 v1, 0x4a8, v0
	v_mov_b32_e32 v4, 0
	v_mov_b32_e32 v2, 0
	;; [unrolled: 1-line block ×3, first 2 shown]
	s_waitcnt lgkmcnt(0)
	s_load_b64 s[20:21], s[16:17], 0x0
	s_load_b64 s[12:13], s[18:19], 0x0
	v_lshrrev_b32_e32 v1, 16, v1
	v_cmp_lt_u64_e64 s2, s[10:11], 2
	s_delay_alu instid0(VALU_DEP_2) | instskip(NEXT) | instid1(VALU_DEP_2)
	v_dual_mov_b32 v7, v4 :: v_dual_add_nc_u32 v6, s15, v1
	s_and_b32 vcc_lo, exec_lo, s2
	s_cbranch_vccnz .LBB0_8
; %bb.1:
	s_load_b64 s[2:3], s[0:1], 0x10
	v_mov_b32_e32 v2, 0
	v_mov_b32_e32 v3, 0
	s_add_u32 s14, s18, 8
	s_addc_u32 s15, s19, 0
	s_add_u32 s22, s16, 8
	s_addc_u32 s23, s17, 0
	v_dual_mov_b32 v41, v3 :: v_dual_mov_b32 v40, v2
	s_mov_b64 s[26:27], 1
	s_waitcnt lgkmcnt(0)
	s_add_u32 s24, s2, 8
	s_addc_u32 s25, s3, 0
.LBB0_2:                                ; =>This Inner Loop Header: Depth=1
	s_load_b64 s[28:29], s[24:25], 0x0
                                        ; implicit-def: $vgpr42_vgpr43
	s_mov_b32 s2, exec_lo
	s_waitcnt lgkmcnt(0)
	v_or_b32_e32 v5, s29, v7
	s_delay_alu instid0(VALU_DEP_1)
	v_cmpx_ne_u64_e32 0, v[4:5]
	s_xor_b32 s3, exec_lo, s2
	s_cbranch_execz .LBB0_4
; %bb.3:                                ;   in Loop: Header=BB0_2 Depth=1
	v_cvt_f32_u32_e32 v1, s28
	v_cvt_f32_u32_e32 v5, s29
	s_sub_u32 s2, 0, s28
	s_subb_u32 s30, 0, s29
	s_delay_alu instid0(VALU_DEP_1) | instskip(NEXT) | instid1(VALU_DEP_1)
	v_fmac_f32_e32 v1, 0x4f800000, v5
	v_rcp_f32_e32 v1, v1
	s_waitcnt_depctr 0xfff
	v_mul_f32_e32 v1, 0x5f7ffffc, v1
	s_delay_alu instid0(VALU_DEP_1) | instskip(NEXT) | instid1(VALU_DEP_1)
	v_mul_f32_e32 v5, 0x2f800000, v1
	v_trunc_f32_e32 v5, v5
	s_delay_alu instid0(VALU_DEP_1) | instskip(SKIP_1) | instid1(VALU_DEP_2)
	v_fmac_f32_e32 v1, 0xcf800000, v5
	v_cvt_u32_f32_e32 v5, v5
	v_cvt_u32_f32_e32 v1, v1
	s_delay_alu instid0(VALU_DEP_2) | instskip(NEXT) | instid1(VALU_DEP_2)
	v_mul_lo_u32 v8, s2, v5
	v_mul_hi_u32 v9, s2, v1
	v_mul_lo_u32 v10, s30, v1
	s_delay_alu instid0(VALU_DEP_2) | instskip(SKIP_1) | instid1(VALU_DEP_2)
	v_add_nc_u32_e32 v8, v9, v8
	v_mul_lo_u32 v9, s2, v1
	v_add_nc_u32_e32 v8, v8, v10
	s_delay_alu instid0(VALU_DEP_2) | instskip(NEXT) | instid1(VALU_DEP_2)
	v_mul_hi_u32 v10, v1, v9
	v_mul_lo_u32 v11, v1, v8
	v_mul_hi_u32 v12, v1, v8
	v_mul_hi_u32 v13, v5, v9
	v_mul_lo_u32 v9, v5, v9
	v_mul_hi_u32 v14, v5, v8
	v_mul_lo_u32 v8, v5, v8
	v_add_co_u32 v10, vcc_lo, v10, v11
	v_add_co_ci_u32_e32 v11, vcc_lo, 0, v12, vcc_lo
	s_delay_alu instid0(VALU_DEP_2) | instskip(NEXT) | instid1(VALU_DEP_2)
	v_add_co_u32 v9, vcc_lo, v10, v9
	v_add_co_ci_u32_e32 v9, vcc_lo, v11, v13, vcc_lo
	v_add_co_ci_u32_e32 v10, vcc_lo, 0, v14, vcc_lo
	s_delay_alu instid0(VALU_DEP_2) | instskip(NEXT) | instid1(VALU_DEP_2)
	v_add_co_u32 v8, vcc_lo, v9, v8
	v_add_co_ci_u32_e32 v9, vcc_lo, 0, v10, vcc_lo
	s_delay_alu instid0(VALU_DEP_2) | instskip(NEXT) | instid1(VALU_DEP_2)
	v_add_co_u32 v1, vcc_lo, v1, v8
	v_add_co_ci_u32_e32 v5, vcc_lo, v5, v9, vcc_lo
	s_delay_alu instid0(VALU_DEP_2) | instskip(SKIP_1) | instid1(VALU_DEP_3)
	v_mul_hi_u32 v8, s2, v1
	v_mul_lo_u32 v10, s30, v1
	v_mul_lo_u32 v9, s2, v5
	s_delay_alu instid0(VALU_DEP_1) | instskip(SKIP_1) | instid1(VALU_DEP_2)
	v_add_nc_u32_e32 v8, v8, v9
	v_mul_lo_u32 v9, s2, v1
	v_add_nc_u32_e32 v8, v8, v10
	s_delay_alu instid0(VALU_DEP_2) | instskip(NEXT) | instid1(VALU_DEP_2)
	v_mul_hi_u32 v10, v1, v9
	v_mul_lo_u32 v11, v1, v8
	v_mul_hi_u32 v12, v1, v8
	v_mul_hi_u32 v13, v5, v9
	v_mul_lo_u32 v9, v5, v9
	v_mul_hi_u32 v14, v5, v8
	v_mul_lo_u32 v8, v5, v8
	v_add_co_u32 v10, vcc_lo, v10, v11
	v_add_co_ci_u32_e32 v11, vcc_lo, 0, v12, vcc_lo
	s_delay_alu instid0(VALU_DEP_2) | instskip(NEXT) | instid1(VALU_DEP_2)
	v_add_co_u32 v9, vcc_lo, v10, v9
	v_add_co_ci_u32_e32 v9, vcc_lo, v11, v13, vcc_lo
	v_add_co_ci_u32_e32 v10, vcc_lo, 0, v14, vcc_lo
	s_delay_alu instid0(VALU_DEP_2) | instskip(NEXT) | instid1(VALU_DEP_2)
	v_add_co_u32 v8, vcc_lo, v9, v8
	v_add_co_ci_u32_e32 v9, vcc_lo, 0, v10, vcc_lo
	s_delay_alu instid0(VALU_DEP_2) | instskip(NEXT) | instid1(VALU_DEP_2)
	v_add_co_u32 v1, vcc_lo, v1, v8
	v_add_co_ci_u32_e32 v5, vcc_lo, v5, v9, vcc_lo
	s_delay_alu instid0(VALU_DEP_2) | instskip(SKIP_1) | instid1(VALU_DEP_3)
	v_mul_hi_u32 v14, v6, v1
	v_mad_u64_u32 v[10:11], null, v7, v1, 0
	v_mad_u64_u32 v[8:9], null, v6, v5, 0
	;; [unrolled: 1-line block ×3, first 2 shown]
	s_delay_alu instid0(VALU_DEP_2) | instskip(NEXT) | instid1(VALU_DEP_3)
	v_add_co_u32 v1, vcc_lo, v14, v8
	v_add_co_ci_u32_e32 v5, vcc_lo, 0, v9, vcc_lo
	s_delay_alu instid0(VALU_DEP_2) | instskip(NEXT) | instid1(VALU_DEP_2)
	v_add_co_u32 v1, vcc_lo, v1, v10
	v_add_co_ci_u32_e32 v1, vcc_lo, v5, v11, vcc_lo
	v_add_co_ci_u32_e32 v5, vcc_lo, 0, v13, vcc_lo
	s_delay_alu instid0(VALU_DEP_2) | instskip(NEXT) | instid1(VALU_DEP_2)
	v_add_co_u32 v1, vcc_lo, v1, v12
	v_add_co_ci_u32_e32 v5, vcc_lo, 0, v5, vcc_lo
	s_delay_alu instid0(VALU_DEP_2) | instskip(SKIP_1) | instid1(VALU_DEP_3)
	v_mul_lo_u32 v10, s29, v1
	v_mad_u64_u32 v[8:9], null, s28, v1, 0
	v_mul_lo_u32 v11, s28, v5
	s_delay_alu instid0(VALU_DEP_2) | instskip(NEXT) | instid1(VALU_DEP_2)
	v_sub_co_u32 v8, vcc_lo, v6, v8
	v_add3_u32 v9, v9, v11, v10
	s_delay_alu instid0(VALU_DEP_1) | instskip(NEXT) | instid1(VALU_DEP_1)
	v_sub_nc_u32_e32 v10, v7, v9
	v_subrev_co_ci_u32_e64 v10, s2, s29, v10, vcc_lo
	v_add_co_u32 v11, s2, v1, 2
	s_delay_alu instid0(VALU_DEP_1) | instskip(SKIP_3) | instid1(VALU_DEP_3)
	v_add_co_ci_u32_e64 v12, s2, 0, v5, s2
	v_sub_co_u32 v13, s2, v8, s28
	v_sub_co_ci_u32_e32 v9, vcc_lo, v7, v9, vcc_lo
	v_subrev_co_ci_u32_e64 v10, s2, 0, v10, s2
	v_cmp_le_u32_e32 vcc_lo, s28, v13
	s_delay_alu instid0(VALU_DEP_3) | instskip(SKIP_1) | instid1(VALU_DEP_4)
	v_cmp_eq_u32_e64 s2, s29, v9
	v_cndmask_b32_e64 v13, 0, -1, vcc_lo
	v_cmp_le_u32_e32 vcc_lo, s29, v10
	v_cndmask_b32_e64 v14, 0, -1, vcc_lo
	v_cmp_le_u32_e32 vcc_lo, s28, v8
	;; [unrolled: 2-line block ×3, first 2 shown]
	v_cndmask_b32_e64 v15, 0, -1, vcc_lo
	v_cmp_eq_u32_e32 vcc_lo, s29, v10
	s_delay_alu instid0(VALU_DEP_2) | instskip(SKIP_3) | instid1(VALU_DEP_3)
	v_cndmask_b32_e64 v8, v15, v8, s2
	v_cndmask_b32_e32 v10, v14, v13, vcc_lo
	v_add_co_u32 v13, vcc_lo, v1, 1
	v_add_co_ci_u32_e32 v14, vcc_lo, 0, v5, vcc_lo
	v_cmp_ne_u32_e32 vcc_lo, 0, v10
	s_delay_alu instid0(VALU_DEP_2) | instskip(SKIP_1) | instid1(VALU_DEP_2)
	v_dual_cndmask_b32 v9, v14, v12 :: v_dual_cndmask_b32 v10, v13, v11
	v_cmp_ne_u32_e32 vcc_lo, 0, v8
	v_cndmask_b32_e32 v43, v5, v9, vcc_lo
	s_delay_alu instid0(VALU_DEP_3)
	v_cndmask_b32_e32 v42, v1, v10, vcc_lo
.LBB0_4:                                ;   in Loop: Header=BB0_2 Depth=1
	s_and_not1_saveexec_b32 s2, s3
	s_cbranch_execz .LBB0_6
; %bb.5:                                ;   in Loop: Header=BB0_2 Depth=1
	v_cvt_f32_u32_e32 v1, s28
	s_sub_i32 s3, 0, s28
	v_mov_b32_e32 v43, v4
	s_delay_alu instid0(VALU_DEP_2) | instskip(SKIP_2) | instid1(VALU_DEP_1)
	v_rcp_iflag_f32_e32 v1, v1
	s_waitcnt_depctr 0xfff
	v_mul_f32_e32 v1, 0x4f7ffffe, v1
	v_cvt_u32_f32_e32 v1, v1
	s_delay_alu instid0(VALU_DEP_1) | instskip(NEXT) | instid1(VALU_DEP_1)
	v_mul_lo_u32 v5, s3, v1
	v_mul_hi_u32 v5, v1, v5
	s_delay_alu instid0(VALU_DEP_1) | instskip(NEXT) | instid1(VALU_DEP_1)
	v_add_nc_u32_e32 v1, v1, v5
	v_mul_hi_u32 v1, v6, v1
	s_delay_alu instid0(VALU_DEP_1) | instskip(SKIP_1) | instid1(VALU_DEP_2)
	v_mul_lo_u32 v5, v1, s28
	v_add_nc_u32_e32 v8, 1, v1
	v_sub_nc_u32_e32 v5, v6, v5
	s_delay_alu instid0(VALU_DEP_1) | instskip(SKIP_1) | instid1(VALU_DEP_2)
	v_subrev_nc_u32_e32 v9, s28, v5
	v_cmp_le_u32_e32 vcc_lo, s28, v5
	v_cndmask_b32_e32 v5, v5, v9, vcc_lo
	v_cndmask_b32_e32 v1, v1, v8, vcc_lo
	s_delay_alu instid0(VALU_DEP_2) | instskip(NEXT) | instid1(VALU_DEP_2)
	v_cmp_le_u32_e32 vcc_lo, s28, v5
	v_add_nc_u32_e32 v8, 1, v1
	s_delay_alu instid0(VALU_DEP_1)
	v_cndmask_b32_e32 v42, v1, v8, vcc_lo
.LBB0_6:                                ;   in Loop: Header=BB0_2 Depth=1
	s_or_b32 exec_lo, exec_lo, s2
	v_mul_lo_u32 v1, v43, s28
	s_delay_alu instid0(VALU_DEP_2)
	v_mul_lo_u32 v5, v42, s29
	s_load_b64 s[2:3], s[22:23], 0x0
	v_mad_u64_u32 v[8:9], null, v42, s28, 0
	s_load_b64 s[28:29], s[14:15], 0x0
	s_add_u32 s26, s26, 1
	s_addc_u32 s27, s27, 0
	s_add_u32 s14, s14, 8
	s_addc_u32 s15, s15, 0
	s_add_u32 s22, s22, 8
	s_delay_alu instid0(VALU_DEP_1) | instskip(SKIP_3) | instid1(VALU_DEP_2)
	v_add3_u32 v1, v9, v5, v1
	v_sub_co_u32 v9, vcc_lo, v6, v8
	s_addc_u32 s23, s23, 0
	s_add_u32 s24, s24, 8
	v_sub_co_ci_u32_e32 v1, vcc_lo, v7, v1, vcc_lo
	s_addc_u32 s25, s25, 0
	s_waitcnt lgkmcnt(0)
	s_delay_alu instid0(VALU_DEP_1)
	v_mul_lo_u32 v10, s2, v1
	v_mul_lo_u32 v11, s3, v9
	v_mad_u64_u32 v[5:6], null, s2, v9, v[2:3]
	v_mul_lo_u32 v1, s28, v1
	v_mul_lo_u32 v12, s29, v9
	v_mad_u64_u32 v[7:8], null, s28, v9, v[40:41]
	v_cmp_ge_u64_e64 s2, s[26:27], s[10:11]
	v_add3_u32 v3, v11, v6, v10
	v_mov_b32_e32 v2, v5
	s_delay_alu instid0(VALU_DEP_4)
	v_add3_u32 v41, v12, v8, v1
	v_mov_b32_e32 v40, v7
	s_and_b32 vcc_lo, exec_lo, s2
	s_cbranch_vccnz .LBB0_9
; %bb.7:                                ;   in Loop: Header=BB0_2 Depth=1
	v_dual_mov_b32 v6, v42 :: v_dual_mov_b32 v7, v43
	s_branch .LBB0_2
.LBB0_8:
	v_dual_mov_b32 v41, v3 :: v_dual_mov_b32 v40, v2
	s_delay_alu instid0(VALU_DEP_2)
	v_dual_mov_b32 v43, v7 :: v_dual_mov_b32 v42, v6
.LBB0_9:
	s_load_b64 s[0:1], s[0:1], 0x28
	v_mul_hi_u32 v14, 0x4a7904b, v0
	s_lshl_b64 s[10:11], s[10:11], 3
                                        ; implicit-def: $sgpr14_sgpr15
                                        ; implicit-def: $vgpr113
                                        ; implicit-def: $vgpr114
                                        ; implicit-def: $vgpr115
                                        ; implicit-def: $vgpr116
                                        ; implicit-def: $vgpr118
	s_delay_alu instid0(SALU_CYCLE_1) | instskip(SKIP_4) | instid1(VALU_DEP_1)
	s_add_u32 s2, s18, s10
	s_addc_u32 s3, s19, s11
	s_waitcnt lgkmcnt(0)
	v_cmp_gt_u64_e32 vcc_lo, s[0:1], v[42:43]
	v_cmp_le_u64_e64 s0, s[0:1], v[42:43]
	s_and_saveexec_b32 s1, s0
	s_delay_alu instid0(SALU_CYCLE_1)
	s_xor_b32 s0, exec_lo, s1
; %bb.10:
	v_mul_u32_u24_e32 v1, 55, v14
	s_mov_b64 s[14:15], 0
                                        ; implicit-def: $vgpr14
                                        ; implicit-def: $vgpr2_vgpr3
	s_delay_alu instid0(VALU_DEP_1) | instskip(NEXT) | instid1(VALU_DEP_1)
	v_sub_nc_u32_e32 v113, v0, v1
                                        ; implicit-def: $vgpr0
	v_add_nc_u32_e32 v114, 55, v113
	v_add_nc_u32_e32 v115, 0x6e, v113
	;; [unrolled: 1-line block ×4, first 2 shown]
; %bb.11:
	s_or_saveexec_b32 s1, s0
	v_dual_mov_b32 v4, s14 :: v_dual_mov_b32 v5, s15
	v_dual_mov_b32 v8, s14 :: v_dual_mov_b32 v9, s15
	;; [unrolled: 1-line block ×20, first 2 shown]
                                        ; implicit-def: $vgpr1
                                        ; implicit-def: $vgpr15
                                        ; implicit-def: $vgpr57
                                        ; implicit-def: $vgpr59
                                        ; implicit-def: $vgpr91
                                        ; implicit-def: $vgpr93
                                        ; implicit-def: $vgpr95
                                        ; implicit-def: $vgpr110
                                        ; implicit-def: $vgpr112
                                        ; implicit-def: $vgpr108
                                        ; implicit-def: $vgpr89
                                        ; implicit-def: $vgpr71
                                        ; implicit-def: $vgpr69
                                        ; implicit-def: $vgpr29
                                        ; implicit-def: $vgpr25
	s_xor_b32 exec_lo, exec_lo, s1
	s_cbranch_execz .LBB0_13
; %bb.12:
	s_add_u32 s10, s16, s10
	s_addc_u32 s11, s17, s11
	v_mul_u32_u24_e32 v1, 55, v14
	s_load_b64 s[10:11], s[10:11], 0x0
	v_lshlrev_b64 v[2:3], 3, v[2:3]
	s_delay_alu instid0(VALU_DEP_2) | instskip(NEXT) | instid1(VALU_DEP_1)
	v_sub_nc_u32_e32 v113, v0, v1
	v_add_nc_u32_e32 v15, 0x113, v113
	v_mad_u64_u32 v[0:1], null, s20, v113, 0
	v_add_nc_u32_e32 v17, 0x339, v113
	v_add_nc_u32_e32 v31, 0x483, v113
	s_delay_alu instid0(VALU_DEP_4) | instskip(SKIP_1) | instid1(VALU_DEP_4)
	v_mad_u64_u32 v[4:5], null, s20, v15, 0
	v_add_nc_u32_e32 v16, 0x226, v113
	v_mad_u64_u32 v[8:9], null, s20, v17, 0
	v_mad_u64_u32 v[12:13], null, s21, v113, v[1:2]
	s_waitcnt lgkmcnt(0)
	v_mul_lo_u32 v14, s11, v42
	v_mov_b32_e32 v1, v5
	v_mul_lo_u32 v18, s10, v43
	v_mad_u64_u32 v[10:11], null, s10, v42, 0
	v_mad_u64_u32 v[6:7], null, s20, v16, 0
	v_add_nc_u32_e32 v22, 0x55f, v113
	v_add_nc_u32_e32 v114, 55, v113
	;; [unrolled: 1-line block ×3, first 2 shown]
	v_mad_u64_u32 v[28:29], null, s20, v31, 0
	v_add3_u32 v11, v11, v18, v14
	v_mad_u64_u32 v[13:14], null, s21, v15, v[1:2]
	v_mov_b32_e32 v5, v7
	v_mov_b32_e32 v7, v9
	s_delay_alu instid0(VALU_DEP_4) | instskip(SKIP_1) | instid1(VALU_DEP_4)
	v_lshlrev_b64 v[9:10], 3, v[10:11]
	v_dual_mov_b32 v1, v12 :: v_dual_add_nc_u32 v30, 0x370, v113
	v_mad_u64_u32 v[14:15], null, s21, v16, v[5:6]
	v_mov_b32_e32 v5, v13
	s_delay_alu instid0(VALU_DEP_4) | instskip(NEXT) | instid1(VALU_DEP_4)
	v_add_co_u32 v9, s0, s4, v9
	v_mad_u64_u32 v[26:27], null, s20, v30, 0
	v_add_nc_u32_e32 v19, 0x44c, v113
	v_add_co_ci_u32_e64 v10, s0, s5, v10, s0
	v_mad_u64_u32 v[11:12], null, s21, v17, v[7:8]
	v_lshlrev_b64 v[0:1], 3, v[0:1]
	v_mov_b32_e32 v7, v14
	v_add_co_u32 v2, s0, v9, v2
	v_mad_u64_u32 v[12:13], null, s20, v19, 0
	v_add_co_ci_u32_e64 v3, s0, v10, v3, s0
	v_lshlrev_b64 v[4:5], 3, v[4:5]
	s_delay_alu instid0(VALU_DEP_4) | instskip(SKIP_1) | instid1(VALU_DEP_4)
	v_add_co_u32 v0, s0, v2, v0
	v_lshlrev_b64 v[6:7], 3, v[6:7]
	v_add_co_ci_u32_e64 v1, s0, v3, v1, s0
	s_delay_alu instid0(VALU_DEP_4)
	v_add_co_u32 v4, s0, v2, v4
	v_dual_mov_b32 v9, v11 :: v_dual_add_nc_u32 v32, 0x596, v113
	v_mov_b32_e32 v10, v13
	v_add_co_ci_u32_e64 v5, s0, v3, v5, s0
	v_mad_u64_u32 v[14:15], null, s20, v22, 0
	v_add_co_u32 v16, s0, v2, v6
	v_add_nc_u32_e32 v23, 0x672, v113
	v_add_co_ci_u32_e64 v17, s0, v3, v7, s0
	v_lshlrev_b64 v[6:7], 3, v[8:9]
	v_mad_u64_u32 v[8:9], null, s21, v19, v[10:11]
	s_delay_alu instid0(VALU_DEP_4) | instskip(SKIP_1) | instid1(VALU_DEP_4)
	v_mad_u64_u32 v[10:11], null, s20, v23, 0
	v_dual_mov_b32 v9, v15 :: v_dual_add_nc_u32 v44, 0x181, v113
	v_add_co_u32 v18, s0, v2, v6
	s_delay_alu instid0(VALU_DEP_4) | instskip(SKIP_1) | instid1(VALU_DEP_4)
	v_mov_b32_e32 v13, v8
	v_add_co_ci_u32_e64 v19, s0, v3, v7, s0
	v_mad_u64_u32 v[20:21], null, s21, v22, v[9:10]
	v_mad_u64_u32 v[21:22], null, s20, v114, 0
	s_delay_alu instid0(VALU_DEP_4)
	v_lshlrev_b64 v[12:13], 3, v[12:13]
	s_clause 0x3
	global_load_b64 v[6:7], v[0:1], off
	global_load_b64 v[4:5], v[4:5], off
	;; [unrolled: 1-line block ×4, first 2 shown]
	v_add_nc_u32_e32 v25, 0x25d, v113
	v_add_nc_u32_e32 v115, 0x6e, v113
	;; [unrolled: 1-line block ×3, first 2 shown]
	v_mad_u64_u32 v[36:37], null, s20, v44, 0
	v_mad_u64_u32 v[16:17], null, s21, v23, v[11:12]
	v_mov_b32_e32 v17, v22
	v_mad_u64_u32 v[34:35], null, s20, v115, 0
	v_mov_b32_e32 v15, v20
	v_add_co_u32 v12, s0, v2, v12
	s_delay_alu instid0(VALU_DEP_4)
	v_mad_u64_u32 v[18:19], null, s21, v114, v[17:18]
	v_mov_b32_e32 v11, v16
	v_mad_u64_u32 v[16:17], null, s20, v24, 0
	v_lshlrev_b64 v[14:15], 3, v[14:15]
	v_add_co_ci_u32_e64 v13, s0, v3, v13, s0
	v_mov_b32_e32 v22, v18
	v_mad_u64_u32 v[18:19], null, s20, v25, 0
	v_lshlrev_b64 v[10:11], 3, v[10:11]
	v_add_co_u32 v14, s0, v2, v14
	s_delay_alu instid0(VALU_DEP_4) | instskip(SKIP_3) | instid1(VALU_DEP_4)
	v_lshlrev_b64 v[20:21], 3, v[21:22]
	v_add_co_ci_u32_e64 v15, s0, v3, v15, s0
	v_mad_u64_u32 v[22:23], null, s21, v24, v[17:18]
	v_add_co_u32 v10, s0, v2, v10
	v_mad_u64_u32 v[23:24], null, s21, v25, v[19:20]
	v_add_co_ci_u32_e64 v11, s0, v3, v11, s0
	s_delay_alu instid0(VALU_DEP_4) | instskip(SKIP_2) | instid1(VALU_DEP_1)
	v_dual_mov_b32 v17, v22 :: v_dual_add_nc_u32 v116, 0xa5, v113
	v_mov_b32_e32 v22, v27
	v_add_co_u32 v20, s0, v2, v20
	v_add_co_ci_u32_e64 v21, s0, v3, v21, s0
	v_dual_mov_b32 v19, v23 :: v_dual_add_nc_u32 v50, 0x1b8, v113
	s_delay_alu instid0(VALU_DEP_4)
	v_mad_u64_u32 v[23:24], null, s21, v30, v[22:23]
	s_clause 0x3
	global_load_b64 v[12:13], v[12:13], off
	global_load_b64 v[14:15], v[14:15], off
	;; [unrolled: 1-line block ×4, first 2 shown]
	v_mov_b32_e32 v20, v29
	v_lshlrev_b64 v[16:17], 3, v[16:17]
	v_lshlrev_b64 v[18:19], 3, v[18:19]
	v_add_nc_u32_e32 v52, 0x3de, v113
	v_add_nc_u32_e32 v47, 0x3a7, v113
	v_mad_u64_u32 v[21:22], null, s21, v31, v[20:21]
	v_mad_u64_u32 v[30:31], null, s20, v32, 0
	v_mov_b32_e32 v27, v23
	v_add_co_u32 v16, s0, v2, v16
	s_delay_alu instid0(VALU_DEP_1) | instskip(NEXT) | instid1(VALU_DEP_4)
	v_add_co_ci_u32_e64 v17, s0, v3, v17, s0
	v_dual_mov_b32 v29, v21 :: v_dual_mov_b32 v20, v31
	v_add_nc_u32_e32 v21, 0x6a9, v113
	v_lshlrev_b64 v[22:23], 3, v[26:27]
	v_add_co_u32 v18, s0, v2, v18
	s_delay_alu instid0(VALU_DEP_4) | instskip(NEXT) | instid1(VALU_DEP_4)
	v_lshlrev_b64 v[26:27], 3, v[28:29]
	v_mad_u64_u32 v[28:29], null, s21, v32, v[20:21]
	v_mad_u64_u32 v[32:33], null, s20, v21, 0
	v_add_co_ci_u32_e64 v19, s0, v3, v19, s0
	v_add_co_u32 v22, s0, v2, v22
	s_delay_alu instid0(VALU_DEP_1) | instskip(NEXT) | instid1(VALU_DEP_4)
	v_add_co_ci_u32_e64 v23, s0, v3, v23, s0
	v_mov_b32_e32 v20, v33
	v_add_co_u32 v26, s0, v2, v26
	s_delay_alu instid0(VALU_DEP_1) | instskip(SKIP_1) | instid1(VALU_DEP_4)
	v_add_co_ci_u32_e64 v27, s0, v3, v27, s0
	v_mov_b32_e32 v31, v28
	v_mad_u64_u32 v[38:39], null, s21, v21, v[20:21]
	s_clause 0x3
	global_load_b64 v[20:21], v[16:17], off
	global_load_b64 v[18:19], v[18:19], off
	global_load_b64 v[28:29], v[22:23], off
	global_load_b64 v[22:23], v[26:27], off
	v_dual_mov_b32 v16, v35 :: v_dual_mov_b32 v17, v37
	v_lshlrev_b64 v[26:27], 3, v[30:31]
	v_add_nc_u32_e32 v118, 0xdc, v113
	v_add_nc_u32_e32 v49, 0x6e0, v113
	v_mov_b32_e32 v33, v38
	v_mad_u64_u32 v[30:31], null, s21, v115, v[16:17]
	v_add_co_u32 v16, s0, v2, v26
	v_add_nc_u32_e32 v51, 0x2cb, v113
	s_delay_alu instid0(VALU_DEP_3) | instskip(NEXT) | instid1(VALU_DEP_1)
	v_mov_b32_e32 v35, v30
	v_lshlrev_b64 v[30:31], 3, v[34:35]
	s_waitcnt vmcnt(2)
	v_mad_u64_u32 v[37:38], null, s21, v44, v[17:18]
	v_add_nc_u32_e32 v44, 0x294, v113
	v_add_co_ci_u32_e64 v17, s0, v3, v27, s0
	v_lshlrev_b64 v[26:27], 3, v[32:33]
	s_delay_alu instid0(VALU_DEP_3) | instskip(SKIP_2) | instid1(VALU_DEP_4)
	v_mad_u64_u32 v[32:33], null, s20, v44, 0
	v_lshlrev_b64 v[34:35], 3, v[36:37]
	v_mad_u64_u32 v[36:37], null, s20, v47, 0
	v_add_co_u32 v26, s0, v2, v26
	s_delay_alu instid0(VALU_DEP_1) | instskip(NEXT) | instid1(VALU_DEP_4)
	v_add_co_ci_u32_e64 v27, s0, v3, v27, s0
	v_mad_u64_u32 v[38:39], null, s21, v44, v[33:34]
	v_mad_u64_u32 v[44:45], null, s20, v48, 0
	v_add_co_u32 v30, s0, v2, v30
	s_delay_alu instid0(VALU_DEP_1) | instskip(NEXT) | instid1(VALU_DEP_4)
	v_add_co_ci_u32_e64 v31, s0, v3, v31, s0
	v_mov_b32_e32 v33, v38
	v_add_co_u32 v34, s0, v2, v34
	v_mov_b32_e32 v39, v45
	v_mad_u64_u32 v[45:46], null, s21, v47, v[37:38]
	v_add_co_ci_u32_e64 v35, s0, v3, v35, s0
	s_delay_alu instid0(VALU_DEP_3)
	v_mad_u64_u32 v[46:47], null, s21, v48, v[39:40]
	v_add_nc_u32_e32 v47, 0x5cd, v113
	s_clause 0x3
	global_load_b64 v[56:57], v[16:17], off
	global_load_b64 v[58:59], v[26:27], off
	;; [unrolled: 1-line block ×4, first 2 shown]
	v_mov_b32_e32 v37, v45
	v_lshlrev_b64 v[16:17], 3, v[32:33]
	v_mad_u64_u32 v[32:33], null, s20, v47, 0
	s_delay_alu instid0(VALU_DEP_3) | instskip(SKIP_1) | instid1(VALU_DEP_4)
	v_lshlrev_b64 v[34:35], 3, v[36:37]
	v_mov_b32_e32 v45, v46
	v_add_co_u32 v16, s0, v2, v16
	s_delay_alu instid0(VALU_DEP_1) | instskip(NEXT) | instid1(VALU_DEP_3)
	v_add_co_ci_u32_e64 v17, s0, v3, v17, s0
	v_lshlrev_b64 v[36:37], 3, v[44:45]
	v_mad_u64_u32 v[38:39], null, s21, v47, v[33:34]
	v_mad_u64_u32 v[44:45], null, s20, v49, 0
	;; [unrolled: 1-line block ×3, first 2 shown]
	v_add_co_u32 v34, s0, v2, v34
	s_delay_alu instid0(VALU_DEP_4) | instskip(SKIP_1) | instid1(VALU_DEP_4)
	v_mov_b32_e32 v33, v38
	v_add_co_ci_u32_e64 v35, s0, v3, v35, s0
	v_dual_mov_b32 v38, v45 :: v_dual_mov_b32 v39, v47
	s_delay_alu instid0(VALU_DEP_3) | instskip(SKIP_1) | instid1(VALU_DEP_1)
	v_lshlrev_b64 v[32:33], 3, v[32:33]
	v_add_co_u32 v36, s0, v2, v36
	v_add_co_ci_u32_e64 v37, s0, v3, v37, s0
	s_delay_alu instid0(VALU_DEP_4) | instskip(SKIP_3) | instid1(VALU_DEP_4)
	v_mad_u64_u32 v[47:48], null, s21, v49, v[38:39]
	v_mad_u64_u32 v[48:49], null, s21, v116, v[39:40]
	;; [unrolled: 1-line block ×3, first 2 shown]
	v_add_co_u32 v32, s0, v2, v32
	v_mov_b32_e32 v45, v47
	v_add_co_ci_u32_e64 v33, s0, v3, v33, s0
	v_mov_b32_e32 v47, v48
	s_clause 0x3
	global_load_b64 v[62:63], v[16:17], off
	global_load_b64 v[68:69], v[34:35], off
	;; [unrolled: 1-line block ×4, first 2 shown]
	v_mad_u64_u32 v[48:49], null, s20, v51, 0
	v_mov_b32_e32 v32, v39
	v_lshlrev_b64 v[33:34], 3, v[46:47]
	v_lshlrev_b64 v[16:17], 3, v[44:45]
	s_delay_alu instid0(VALU_DEP_4) | instskip(NEXT) | instid1(VALU_DEP_3)
	v_mov_b32_e32 v35, v49
	v_mad_u64_u32 v[36:37], null, s21, v50, v[32:33]
	s_delay_alu instid0(VALU_DEP_3) | instskip(NEXT) | instid1(VALU_DEP_1)
	v_add_co_u32 v16, s0, v2, v16
	v_add_co_ci_u32_e64 v17, s0, v3, v17, s0
	v_add_co_u32 v32, s0, v2, v33
	s_delay_alu instid0(VALU_DEP_4) | instskip(SKIP_3) | instid1(VALU_DEP_4)
	v_mad_u64_u32 v[44:45], null, s21, v51, v[35:36]
	v_mad_u64_u32 v[45:46], null, s20, v52, 0
	v_mov_b32_e32 v39, v36
	v_add_co_ci_u32_e64 v33, s0, v3, v34, s0
	v_mov_b32_e32 v49, v44
	s_delay_alu instid0(VALU_DEP_3) | instskip(SKIP_2) | instid1(VALU_DEP_4)
	v_lshlrev_b64 v[35:36], 3, v[38:39]
	v_dual_mov_b32 v34, v46 :: v_dual_add_nc_u32 v39, 0x4f1, v113
	v_add_nc_u32_e32 v44, 0x604, v113
	v_lshlrev_b64 v[37:38], 3, v[48:49]
	s_delay_alu instid0(VALU_DEP_3) | instskip(NEXT) | instid1(VALU_DEP_4)
	v_mad_u64_u32 v[46:47], null, s21, v52, v[34:35]
	v_mad_u64_u32 v[47:48], null, s20, v39, 0
	v_add_co_u32 v34, s0, v2, v35
	s_delay_alu instid0(VALU_DEP_1) | instskip(SKIP_1) | instid1(VALU_DEP_1)
	v_add_co_ci_u32_e64 v35, s0, v3, v36, s0
	v_add_co_u32 v36, s0, v2, v37
	v_add_co_ci_u32_e64 v37, s0, v3, v38, s0
	v_mov_b32_e32 v38, v48
	v_mad_u64_u32 v[49:50], null, s20, v44, 0
	s_clause 0x3
	global_load_b64 v[88:89], v[16:17], off
	global_load_b64 v[66:67], v[32:33], off
	;; [unrolled: 1-line block ×4, first 2 shown]
	v_lshlrev_b64 v[16:17], 3, v[45:46]
	v_mad_u64_u32 v[51:52], null, s21, v39, v[38:39]
	v_add_nc_u32_e32 v38, 0x717, v113
	v_add_nc_u32_e32 v52, 0x63b, v113
	v_mov_b32_e32 v32, v50
	v_add_co_u32 v16, s0, v2, v16
	s_delay_alu instid0(VALU_DEP_4) | instskip(SKIP_3) | instid1(VALU_DEP_4)
	v_mad_u64_u32 v[33:34], null, s20, v38, 0
	v_mov_b32_e32 v48, v51
	v_add_co_ci_u32_e64 v17, s0, v3, v17, s0
	v_add_nc_u32_e32 v51, 0x528, v113
	v_mad_u64_u32 v[35:36], null, s21, v44, v[32:33]
	v_mov_b32_e32 v32, v34
	v_lshlrev_b64 v[36:37], 3, v[47:48]
	s_delay_alu instid0(VALU_DEP_3) | instskip(NEXT) | instid1(VALU_DEP_3)
	v_mov_b32_e32 v50, v35
	v_mad_u64_u32 v[34:35], null, s21, v38, v[32:33]
	v_mad_u64_u32 v[38:39], null, s20, v118, 0
	s_delay_alu instid0(VALU_DEP_4) | instskip(NEXT) | instid1(VALU_DEP_1)
	v_add_co_u32 v35, s0, v2, v36
	v_add_co_ci_u32_e64 v36, s0, v3, v37, s0
	v_add_nc_u32_e32 v37, 0x1ef, v113
	v_lshlrev_b64 v[44:45], 3, v[49:50]
	v_lshlrev_b64 v[33:34], 3, v[33:34]
	v_mov_b32_e32 v32, v39
	v_add_nc_u32_e32 v50, 0x302, v113
	v_mad_u64_u32 v[46:47], null, s20, v37, 0
	v_add_co_u32 v44, s0, v2, v44
	s_delay_alu instid0(VALU_DEP_4) | instskip(SKIP_1) | instid1(VALU_DEP_4)
	v_mad_u64_u32 v[48:49], null, s21, v118, v[32:33]
	v_add_co_ci_u32_e64 v45, s0, v3, v45, s0
	v_mov_b32_e32 v32, v47
	v_add_co_u32 v33, s0, v2, v33
	s_delay_alu instid0(VALU_DEP_1) | instskip(SKIP_1) | instid1(VALU_DEP_3)
	v_add_co_ci_u32_e64 v34, s0, v3, v34, s0
	v_mov_b32_e32 v39, v48
	v_mad_u64_u32 v[47:48], null, s21, v37, v[32:33]
	v_mad_u64_u32 v[48:49], null, s20, v50, 0
	s_clause 0x3
	global_load_b64 v[90:91], v[16:17], off
	global_load_b64 v[84:85], v[35:36], off
	global_load_b64 v[92:93], v[44:45], off
	global_load_b64 v[94:95], v[33:34], off
	v_add_nc_u32_e32 v44, 0x415, v113
	v_lshlrev_b64 v[16:17], 3, v[38:39]
	v_lshlrev_b64 v[38:39], 3, v[46:47]
	s_delay_alu instid0(VALU_DEP_3) | instskip(SKIP_1) | instid1(VALU_DEP_4)
	v_mad_u64_u32 v[33:34], null, s20, v44, 0
	v_mov_b32_e32 v32, v49
	v_add_co_u32 v16, s0, v2, v16
	s_delay_alu instid0(VALU_DEP_1) | instskip(SKIP_1) | instid1(VALU_DEP_4)
	v_add_co_ci_u32_e64 v17, s0, v3, v17, s0
	v_add_co_u32 v38, s0, v2, v38
	v_mad_u64_u32 v[35:36], null, s21, v50, v[32:33]
	v_mad_u64_u32 v[36:37], null, s20, v51, 0
	v_mov_b32_e32 v32, v34
	v_add_co_ci_u32_e64 v39, s0, v3, v39, s0
	s_delay_alu instid0(VALU_DEP_4) | instskip(NEXT) | instid1(VALU_DEP_3)
	v_mov_b32_e32 v49, v35
	v_mad_u64_u32 v[34:35], null, s21, v44, v[32:33]
	v_mov_b32_e32 v32, v37
	v_mad_u64_u32 v[44:45], null, s20, v52, 0
	v_add_nc_u32_e32 v35, 0x74e, v113
	s_delay_alu instid0(VALU_DEP_3) | instskip(SKIP_1) | instid1(VALU_DEP_3)
	v_mad_u64_u32 v[46:47], null, s21, v51, v[32:33]
	v_lshlrev_b64 v[47:48], 3, v[48:49]
	v_mad_u64_u32 v[50:51], null, s20, v35, 0
	s_delay_alu instid0(VALU_DEP_3) | instskip(NEXT) | instid1(VALU_DEP_1)
	v_dual_mov_b32 v32, v45 :: v_dual_mov_b32 v37, v46
	v_mad_u64_u32 v[45:46], null, s21, v52, v[32:33]
	s_delay_alu instid0(VALU_DEP_3) | instskip(SKIP_2) | instid1(VALU_DEP_1)
	v_mov_b32_e32 v32, v51
	v_lshlrev_b64 v[33:34], 3, v[33:34]
	v_add_co_u32 v46, s0, v2, v47
	v_add_co_ci_u32_e64 v47, s0, v3, v48, s0
	v_lshlrev_b64 v[44:45], 3, v[44:45]
	s_delay_alu instid0(VALU_DEP_4) | instskip(SKIP_2) | instid1(VALU_DEP_1)
	v_mad_u64_u32 v[48:49], null, s21, v35, v[32:33]
	v_lshlrev_b64 v[35:36], 3, v[36:37]
	v_add_co_u32 v32, s0, v2, v33
	v_add_co_ci_u32_e64 v33, s0, v3, v34, s0
	s_delay_alu instid0(VALU_DEP_4) | instskip(NEXT) | instid1(VALU_DEP_4)
	v_mov_b32_e32 v51, v48
	v_add_co_u32 v34, s0, v2, v35
	s_delay_alu instid0(VALU_DEP_1) | instskip(NEXT) | instid1(VALU_DEP_3)
	v_add_co_ci_u32_e64 v35, s0, v3, v36, s0
	v_lshlrev_b64 v[36:37], 3, v[50:51]
	v_add_co_u32 v44, s0, v2, v44
	s_delay_alu instid0(VALU_DEP_1) | instskip(NEXT) | instid1(VALU_DEP_3)
	v_add_co_ci_u32_e64 v45, s0, v3, v45, s0
	v_add_co_u32 v2, s0, v2, v36
	s_delay_alu instid0(VALU_DEP_1)
	v_add_co_ci_u32_e64 v3, s0, v3, v37, s0
	s_clause 0x6
	global_load_b64 v[97:98], v[16:17], off
	global_load_b64 v[103:104], v[38:39], off
	;; [unrolled: 1-line block ×7, first 2 shown]
.LBB0_13:
	s_or_b32 exec_lo, exec_lo, s1
	v_dual_add_f32 v2, v24, v4 :: v_dual_sub_f32 v33, v13, v1
	v_dual_add_f32 v3, v14, v8 :: v_dual_sub_f32 v16, v5, v25
	;; [unrolled: 1-line block ×3, first 2 shown]
	s_waitcnt vmcnt(22)
	v_sub_f32_e32 v38, v19, v57
	s_delay_alu instid0(VALU_DEP_3) | instskip(NEXT) | instid1(VALU_DEP_3)
	v_dual_add_f32 v34, v2, v3 :: v_dual_sub_f32 v35, v3, v2
	v_dual_sub_f32 v2, v2, v17 :: v_dual_sub_f32 v3, v17, v3
	v_add_f32_e32 v36, v32, v33
	s_delay_alu instid0(VALU_DEP_3) | instskip(SKIP_1) | instid1(VALU_DEP_4)
	v_dual_add_f32 v17, v34, v17 :: v_dual_sub_f32 v34, v33, v32
	v_sub_f32_e32 v33, v16, v33
	v_dual_sub_f32 v32, v32, v16 :: v_dual_mul_f32 v3, 0x3d64c772, v3
	s_delay_alu instid0(VALU_DEP_4) | instskip(NEXT) | instid1(VALU_DEP_4)
	v_add_f32_e32 v16, v16, v36
	v_add_f32_e32 v36, v17, v6
	v_mul_f32_e32 v34, 0xbf08b237, v34
	v_mul_f32_e32 v6, 0x3f4a47b2, v2
	v_fmamk_f32 v2, v2, 0x3f4a47b2, v3
	v_fma_f32 v3, 0x3f3bfb3b, v35, -v3
	v_fmamk_f32 v17, v17, 0xbf955555, v36
	v_mul_f32_e32 v37, 0x3f5ff5aa, v32
	v_fma_f32 v32, 0x3f5ff5aa, v32, -v34
	v_dual_fmamk_f32 v34, v33, 0x3eae86e6, v34 :: v_dual_sub_f32 v39, v23, v29
	s_delay_alu instid0(VALU_DEP_4)
	v_add_f32_e32 v3, v3, v17
	v_add_f32_e32 v2, v2, v17
	v_fma_f32 v33, 0xbeae86e6, v33, -v37
	v_dual_add_f32 v37, v28, v22 :: v_dual_fmac_f32 v32, 0x3ee1c552, v16
	v_fmac_f32_e32 v34, 0x3ee1c552, v16
	v_mad_i32_i24 v123, v115, 28, 0
	s_delay_alu instid0(VALU_DEP_4)
	v_fmac_f32_e32 v33, 0x3ee1c552, v16
	v_mul_i32_i24_e32 v135, 28, v118
	v_sub_f32_e32 v16, v3, v32
	v_add_f32_e32 v3, v3, v32
	v_fma_f32 v6, 0xbf3bfb3b, v35, -v6
	s_waitcnt vmcnt(21)
	v_dual_add_f32 v32, v56, v18 :: v_dual_sub_f32 v35, v21, v59
	v_cmp_gt_u32_e64 s0, 10, v113
	v_mul_i32_i24_e32 v134, 0xffffffe8, v114
	v_add_f32_e32 v6, v6, v17
	v_add_f32_e32 v17, v58, v20
	v_mul_i32_i24_e32 v133, 0xffffffe8, v115
	s_waitcnt vmcnt(16)
	v_dual_add_f32 v48, v68, v64 :: v_dual_sub_f32 v51, v65, v69
	s_delay_alu instid0(VALU_DEP_3) | instskip(SKIP_1) | instid1(VALU_DEP_2)
	v_dual_add_f32 v44, v17, v32 :: v_dual_sub_f32 v45, v32, v17
	v_sub_f32_e32 v17, v17, v37
	v_dual_sub_f32 v32, v37, v32 :: v_dual_add_f32 v37, v44, v37
	s_delay_alu instid0(VALU_DEP_2) | instskip(NEXT) | instid1(VALU_DEP_2)
	v_mul_f32_e32 v44, 0x3f4a47b2, v17
	v_add_f32_e32 v10, v37, v10
	s_delay_alu instid0(VALU_DEP_2) | instskip(NEXT) | instid1(VALU_DEP_2)
	v_fma_f32 v44, 0xbf3bfb3b, v45, -v44
	v_fmamk_f32 v37, v37, 0xbf955555, v10
	v_mul_f32_e32 v32, 0x3d64c772, v32
	s_delay_alu instid0(VALU_DEP_1) | instskip(SKIP_2) | instid1(VALU_DEP_3)
	v_dual_fmamk_f32 v17, v17, 0x3f4a47b2, v32 :: v_dual_add_f32 v46, v38, v39
	v_dual_sub_f32 v47, v39, v38 :: v_dual_sub_f32 v38, v38, v35
	v_sub_f32_e32 v39, v35, v39
	v_add_f32_e32 v17, v17, v37
	s_delay_alu instid0(VALU_DEP_3) | instskip(SKIP_1) | instid1(VALU_DEP_1)
	v_dual_add_f32 v35, v35, v46 :: v_dual_mul_f32 v46, 0xbf08b237, v47
	v_fma_f32 v32, 0x3f3bfb3b, v45, -v32
	v_dual_mul_f32 v47, 0x3f5ff5aa, v38 :: v_dual_add_f32 v32, v32, v37
	v_add_f32_e32 v37, v44, v37
	s_delay_alu instid0(VALU_DEP_4) | instskip(SKIP_1) | instid1(VALU_DEP_4)
	v_fma_f32 v38, 0x3f5ff5aa, v38, -v46
	v_fmamk_f32 v45, v39, 0x3eae86e6, v46
	v_fma_f32 v39, 0xbeae86e6, v39, -v47
	v_add_f32_e32 v44, v6, v33
	v_add_f32_e32 v46, v2, v34
	v_dual_fmac_f32 v38, 0x3ee1c552, v35 :: v_dual_sub_f32 v33, v6, v33
	v_fmac_f32_e32 v45, 0x3ee1c552, v35
	v_dual_fmac_f32 v39, 0x3ee1c552, v35 :: v_dual_sub_f32 v2, v2, v34
	s_delay_alu instid0(VALU_DEP_3) | instskip(SKIP_1) | instid1(VALU_DEP_4)
	v_sub_f32_e32 v47, v32, v38
	v_add_f32_e32 v32, v32, v38
	v_add_f32_e32 v34, v17, v45
	s_delay_alu instid0(VALU_DEP_4)
	v_add_f32_e32 v35, v37, v39
	s_waitcnt vmcnt(14)
	v_dual_sub_f32 v37, v37, v39 :: v_dual_add_f32 v38, v88, v30
	v_add_f32_e32 v39, v70, v62
	v_sub_f32_e32 v17, v17, v45
	v_sub_f32_e32 v45, v31, v89
	;; [unrolled: 1-line block ×3, first 2 shown]
	v_mad_u32_u24 v6, v113, 28, 0
	v_add_f32_e32 v50, v38, v39
	v_dual_sub_f32 v52, v39, v38 :: v_dual_sub_f32 v39, v48, v39
	s_delay_alu instid0(VALU_DEP_4) | instskip(NEXT) | instid1(VALU_DEP_3)
	v_dual_sub_f32 v38, v38, v48 :: v_dual_sub_f32 v53, v51, v49
	v_add_f32_e32 v48, v50, v48
	v_add_f32_e32 v50, v49, v51
	v_sub_f32_e32 v49, v49, v45
	v_sub_f32_e32 v51, v45, v51
	ds_store_2addr_b32 v6, v36, v46 offset1:1
	ds_store_2addr_b32 v6, v44, v16 offset0:2 offset1:3
	ds_store_2addr_b32 v6, v3, v33 offset0:4 offset1:5
	ds_store_b32 v6, v2 offset:24
	v_add_f32_e32 v54, v48, v26
	s_waitcnt vmcnt(7)
	v_dual_add_f32 v2, v94, v76 :: v_dual_add_f32 v3, v92, v74
	v_add_f32_e32 v36, v90, v84
	v_mad_i32_i24 v117, 0xffffffe8, v113, v6
	v_fmamk_f32 v48, v48, 0xbf955555, v54
	v_mul_f32_e32 v39, 0x3d64c772, v39
	v_mul_f32_e32 v26, 0xbf08b237, v53
	;; [unrolled: 1-line block ×3, first 2 shown]
	v_add_f32_e32 v45, v45, v50
	v_mul_f32_e32 v50, 0x3f4a47b2, v38
	v_fmamk_f32 v38, v38, 0x3f4a47b2, v39
	v_fma_f32 v49, 0x3f5ff5aa, v49, -v26
	v_add_f32_e32 v44, v2, v3
	v_add_nc_u32_e32 v124, 0x800, v117
	v_fma_f32 v50, 0xbf3bfb3b, v52, -v50
	v_add_f32_e32 v38, v38, v48
	v_fma_f32 v39, 0x3f3bfb3b, v52, -v39
	v_fma_f32 v52, 0xbeae86e6, v51, -v53
	v_fmac_f32_e32 v49, 0x3ee1c552, v45
	v_fmamk_f32 v51, v51, 0x3eae86e6, v26
	v_add_nc_u32_e32 v126, 0xc00, v117
	v_add_f32_e32 v26, v39, v48
	v_fmac_f32_e32 v52, 0x3ee1c552, v45
	v_add_nc_u32_e32 v131, 0x1600, v117
	v_fmac_f32_e32 v51, 0x3ee1c552, v45
	v_add_nc_u32_e32 v132, 0x1a00, v117
	v_sub_f32_e32 v45, v26, v49
	v_add_f32_e32 v39, v50, v48
	v_add_f32_e32 v48, v26, v49
	;; [unrolled: 1-line block ×3, first 2 shown]
	v_dual_sub_f32 v33, v38, v51 :: v_dual_sub_f32 v38, v75, v93
	s_delay_alu instid0(VALU_DEP_4)
	v_add_f32_e32 v49, v39, v52
	v_sub_f32_e32 v39, v39, v52
	v_dual_sub_f32 v51, v77, v95 :: v_dual_sub_f32 v50, v3, v2
	v_dual_sub_f32 v3, v36, v3 :: v_dual_sub_f32 v2, v2, v36
	v_mad_i32_i24 v26, v114, 28, 0
	v_add_f32_e32 v36, v44, v36
	ds_store_2addr_b32 v26, v10, v34 offset1:1
	ds_store_2addr_b32 v26, v35, v47 offset0:2 offset1:3
	ds_store_2addr_b32 v26, v32, v37 offset0:4 offset1:5
	ds_store_b32 v26, v17 offset:24
	v_mul_f32_e32 v3, 0x3d64c772, v3
	s_waitcnt vmcnt(1)
	v_dual_sub_f32 v46, v85, v91 :: v_dual_sub_f32 v35, v102, v110
	ds_store_2addr_b32 v123, v54, v16 offset1:1
	ds_store_2addr_b32 v123, v49, v45 offset0:2 offset1:3
	ds_store_2addr_b32 v123, v48, v39 offset0:4 offset1:5
	ds_store_b32 v123, v33 offset:24
	v_sub_f32_e32 v33, v106, v108
	v_dual_add_f32 v37, v107, v105 :: v_dual_add_f32 v44, v38, v46
	s_waitcnt vmcnt(0)
	v_dual_add_f32 v17, v111, v103 :: v_dual_add_f32 v34, v109, v101
	s_delay_alu instid0(VALU_DEP_3) | instskip(NEXT) | instid1(VALU_DEP_3)
	v_dual_sub_f32 v32, v104, v112 :: v_dual_sub_f32 v45, v33, v35
	v_add_f32_e32 v44, v51, v44
	v_sub_f32_e32 v52, v46, v38
	v_sub_f32_e32 v38, v38, v51
	;; [unrolled: 1-line block ×3, first 2 shown]
	v_dual_mul_f32 v51, 0x3f4a47b2, v2 :: v_dual_fmamk_f32 v2, v2, 0x3f4a47b2, v3
	v_fma_f32 v3, 0x3f3bfb3b, v50, -v3
	s_delay_alu instid0(VALU_DEP_4) | instskip(SKIP_1) | instid1(VALU_DEP_4)
	v_mul_f32_e32 v55, 0x3f5ff5aa, v38
	v_add_f32_e32 v53, v36, v66
	v_fma_f32 v50, 0xbf3bfb3b, v50, -v51
	v_dual_add_f32 v16, v17, v34 :: v_dual_sub_f32 v39, v34, v17
	s_delay_alu instid0(VALU_DEP_4) | instskip(NEXT) | instid1(VALU_DEP_4)
	v_fma_f32 v51, 0xbeae86e6, v46, -v55
	v_dual_fmamk_f32 v36, v36, 0xbf955555, v53 :: v_dual_sub_f32 v17, v17, v37
	v_sub_f32_e32 v34, v37, v34
	s_delay_alu instid0(VALU_DEP_3) | instskip(NEXT) | instid1(VALU_DEP_3)
	v_dual_add_f32 v16, v16, v37 :: v_dual_fmac_f32 v51, 0x3ee1c552, v44
	v_add_f32_e32 v3, v3, v36
	v_mul_f32_e32 v52, 0xbf08b237, v52
	v_dual_add_f32 v50, v50, v36 :: v_dual_add_f32 v37, v35, v33
	v_dual_add_f32 v2, v2, v36 :: v_dual_sub_f32 v33, v32, v33
	s_delay_alu instid0(VALU_DEP_3) | instskip(SKIP_1) | instid1(VALU_DEP_4)
	v_fma_f32 v38, 0x3f5ff5aa, v38, -v52
	v_dual_mul_f32 v34, 0x3d64c772, v34 :: v_dual_sub_f32 v35, v35, v32
	v_add_f32_e32 v32, v32, v37
	v_mul_f32_e32 v37, 0x3f4a47b2, v17
	s_delay_alu instid0(VALU_DEP_4) | instskip(NEXT) | instid1(VALU_DEP_4)
	v_fmac_f32_e32 v38, 0x3ee1c552, v44
	v_fmamk_f32 v17, v17, 0x3f4a47b2, v34
	v_mul_f32_e32 v45, 0xbf08b237, v45
	v_mul_f32_e32 v47, 0x3f5ff5aa, v35
	v_fma_f32 v37, 0xbf3bfb3b, v39, -v37
	v_sub_f32_e32 v36, v3, v38
	v_dual_add_f32 v3, v3, v38 :: v_dual_fmamk_f32 v46, v46, 0x3eae86e6, v52
	v_add_f32_e32 v38, v50, v51
	v_fma_f32 v35, 0x3f5ff5aa, v35, -v45
	v_mad_i32_i24 v10, v116, 28, 0
	s_load_b64 s[2:3], s[2:3], 0x0
	v_fmac_f32_e32 v46, 0x3ee1c552, v44
	s_delay_alu instid0(VALU_DEP_3) | instskip(SKIP_2) | instid1(VALU_DEP_4)
	v_dual_sub_f32 v44, v50, v51 :: v_dual_fmac_f32 v35, 0x3ee1c552, v32
	v_add_nc_u32_e32 v125, 0x600, v117
	v_add_nc_u32_e32 v66, 0x400, v117
	v_add_f32_e32 v50, v2, v46
	v_sub_f32_e32 v2, v2, v46
	v_add_f32_e32 v46, v16, v97
	ds_store_2addr_b32 v10, v53, v50 offset1:1
	ds_store_2addr_b32 v10, v38, v36 offset0:2 offset1:3
	ds_store_2addr_b32 v10, v3, v44 offset0:4 offset1:5
	ds_store_b32 v10, v2 offset:24
	v_mad_i32_i24 v2, 0xffffffe8, v115, v123
	v_fmamk_f32 v16, v16, 0xbf955555, v46
	v_mad_i32_i24 v3, 0xffffffe8, v114, v26
	v_add_nc_u32_e32 v129, 0x1000, v117
	v_add_nc_u32_e32 v127, 0x1400, v117
	s_delay_alu instid0(VALU_DEP_4) | instskip(SKIP_4) | instid1(VALU_DEP_3)
	v_dual_add_f32 v17, v17, v16 :: v_dual_add_nc_u32 v130, 0x200, v117
	v_fma_f32 v34, 0x3f3bfb3b, v39, -v34
	v_fmamk_f32 v39, v33, 0x3eae86e6, v45
	v_fma_f32 v33, 0xbeae86e6, v33, -v47
	v_add_nc_u32_e32 v128, 0x1800, v117
                                        ; implicit-def: $vgpr54
                                        ; implicit-def: $vgpr50
                                        ; implicit-def: $vgpr47
                                        ; implicit-def: $vgpr53
	v_fmac_f32_e32 v39, 0x3ee1c552, v32
	s_delay_alu instid0(VALU_DEP_3) | instskip(SKIP_2) | instid1(VALU_DEP_1)
	v_fmac_f32_e32 v33, 0x3ee1c552, v32
	v_add_f32_e32 v34, v34, v16
	v_add_f32_e32 v16, v37, v16
	v_dual_sub_f32 v32, v34, v35 :: v_dual_sub_f32 v119, v16, v33
	v_dual_add_f32 v34, v34, v35 :: v_dual_add_f32 v35, v16, v33
	v_add_f32_e32 v33, v17, v39
	v_sub_f32_e32 v16, v17, v39
	v_mad_i32_i24 v17, v118, 28, 0
	ds_store_2addr_b32 v17, v46, v33 offset1:1
	ds_store_2addr_b32 v17, v35, v32 offset0:2 offset1:3
	ds_store_2addr_b32 v17, v34, v119 offset0:4 offset1:5
	ds_store_b32 v17, v16 offset:24
	s_waitcnt lgkmcnt(0)
	s_barrier
	buffer_gl0_inv
	ds_load_b32 v120, v2
	ds_load_b32 v121, v3
	ds_load_b32 v122, v117 offset:7440
	ds_load_2addr_b32 v[2:3], v117 offset1:175
	ds_load_2addr_b32 v[32:33], v66 offset0:94 offset1:149
	ds_load_2addr_b32 v[34:35], v125 offset0:76 offset1:141
	;; [unrolled: 1-line block ×12, first 2 shown]
	ds_load_2addr_b32 v[82:83], v127 offset1:55
	ds_load_2addr_b32 v[99:100], v128 offset0:94 offset1:149
	s_and_saveexec_b32 s1, s0
	s_cbranch_execz .LBB0_15
; %bb.14:
	v_mad_i32_i24 v16, 0xffffffe8, v116, v10
	v_add_nc_u32_e32 v17, 0x500, v117
	v_add_nc_u32_e32 v46, 0xa00, v117
	;; [unrolled: 1-line block ×3, first 2 shown]
	ds_load_b32 v119, v16
	ds_load_2addr_b32 v[16:17], v17 offset0:20 offset1:195
	ds_load_2addr_b32 v[54:55], v46 offset0:50 offset1:225
	;; [unrolled: 1-line block ×5, first 2 shown]
.LBB0_15:
	s_or_b32 exec_lo, exec_lo, s1
	v_dual_add_f32 v5, v25, v5 :: v_dual_sub_f32 v4, v4, v24
	v_dual_add_f32 v9, v15, v9 :: v_dual_sub_f32 v8, v8, v14
	;; [unrolled: 1-line block ×3, first 2 shown]
	s_waitcnt lgkmcnt(0)
	s_delay_alu instid0(VALU_DEP_2) | instskip(SKIP_1) | instid1(VALU_DEP_3)
	v_add_f32_e32 v12, v5, v9
	v_sub_f32_e32 v13, v9, v5
	v_sub_f32_e32 v5, v5, v1
	v_dual_sub_f32 v9, v1, v9 :: v_dual_add_f32 v14, v8, v0
	s_delay_alu instid0(VALU_DEP_4) | instskip(SKIP_1) | instid1(VALU_DEP_3)
	v_add_f32_e32 v1, v12, v1
	v_sub_f32_e32 v12, v0, v8
	v_dual_sub_f32 v0, v4, v0 :: v_dual_mul_f32 v9, 0x3d64c772, v9
	s_barrier
	buffer_gl0_inv
	v_mul_f32_e32 v12, 0xbf08b237, v12
	v_dual_sub_f32 v8, v8, v4 :: v_dual_add_f32 v7, v1, v7
	v_add_f32_e32 v4, v4, v14
	v_dual_mul_f32 v14, 0x3f4a47b2, v5 :: v_dual_fmamk_f32 v5, v5, 0x3f4a47b2, v9
	s_delay_alu instid0(VALU_DEP_3) | instskip(NEXT) | instid1(VALU_DEP_4)
	v_mul_f32_e32 v15, 0x3f5ff5aa, v8
	v_fmamk_f32 v1, v1, 0xbf955555, v7
	v_fma_f32 v9, 0x3f3bfb3b, v13, -v9
	s_delay_alu instid0(VALU_DEP_4) | instskip(SKIP_4) | instid1(VALU_DEP_3)
	v_fma_f32 v13, 0xbf3bfb3b, v13, -v14
	v_fmamk_f32 v14, v0, 0x3eae86e6, v12
	v_fma_f32 v8, 0x3f5ff5aa, v8, -v12
	v_fma_f32 v0, 0xbeae86e6, v0, -v15
	v_sub_f32_e32 v18, v18, v56
	v_fmac_f32_e32 v8, 0x3ee1c552, v4
	v_fmac_f32_e32 v14, 0x3ee1c552, v4
	s_delay_alu instid0(VALU_DEP_4)
	v_fmac_f32_e32 v0, 0x3ee1c552, v4
	v_add_f32_e32 v4, v59, v21
	v_add_f32_e32 v9, v9, v1
	;; [unrolled: 1-line block ×3, first 2 shown]
	v_sub_f32_e32 v21, v22, v28
	v_sub_f32_e32 v28, v62, v70
	;; [unrolled: 1-line block ×3, first 2 shown]
	v_dual_add_f32 v15, v8, v9 :: v_dual_sub_f32 v8, v9, v8
	v_add_f32_e32 v9, v57, v19
	v_sub_f32_e32 v12, v5, v14
	v_dual_sub_f32 v19, v20, v58 :: v_dual_add_f32 v20, v29, v23
	v_add_f32_e32 v1, v13, v1
	s_delay_alu instid0(VALU_DEP_4) | instskip(SKIP_1) | instid1(VALU_DEP_4)
	v_dual_add_f32 v22, v4, v9 :: v_dual_sub_f32 v23, v9, v4
	v_add_f32_e32 v24, v18, v21
	v_sub_f32_e32 v4, v4, v20
	s_delay_alu instid0(VALU_DEP_3) | instskip(SKIP_2) | instid1(VALU_DEP_3)
	v_dual_sub_f32 v9, v20, v9 :: v_dual_add_f32 v20, v22, v20
	v_sub_f32_e32 v13, v1, v0
	v_dual_sub_f32 v22, v21, v18 :: v_dual_sub_f32 v21, v19, v21
	v_mul_f32_e32 v9, 0x3d64c772, v9
	s_delay_alu instid0(VALU_DEP_4)
	v_add_f32_e32 v11, v20, v11
	v_add_f32_e32 v0, v0, v1
	;; [unrolled: 1-line block ×3, first 2 shown]
	v_sub_f32_e32 v29, v64, v68
	v_sub_f32_e32 v58, v74, v92
	v_fmamk_f32 v20, v20, 0xbf955555, v11
	v_dual_sub_f32 v18, v18, v19 :: v_dual_add_f32 v19, v19, v24
	v_mul_f32_e32 v24, 0x3f4a47b2, v4
	v_mul_f32_e32 v22, 0xbf08b237, v22
	v_fmamk_f32 v4, v4, 0x3f4a47b2, v9
	v_fma_f32 v9, 0x3f3bfb3b, v23, -v9
	v_sub_f32_e32 v68, v101, v109
	v_fma_f32 v23, 0xbf3bfb3b, v23, -v24
	v_fmamk_f32 v24, v21, 0x3eae86e6, v22
	v_add_f32_e32 v4, v4, v20
	v_add_f32_e32 v9, v9, v20
	v_mul_f32_e32 v25, 0x3f5ff5aa, v18
	v_fma_f32 v18, 0x3f5ff5aa, v18, -v22
	v_fmac_f32_e32 v24, 0x3ee1c552, v19
	v_add_f32_e32 v22, v71, v63
	v_add_nc_u32_e32 v84, v26, v134
	v_fma_f32 v21, 0xbeae86e6, v21, -v25
	s_delay_alu instid0(VALU_DEP_4) | instskip(SKIP_1) | instid1(VALU_DEP_3)
	v_dual_fmac_f32 v18, 0x3ee1c552, v19 :: v_dual_sub_f32 v5, v4, v24
	v_dual_add_f32 v25, v69, v65 :: v_dual_add_f32 v64, v58, v59
	v_fmac_f32_e32 v21, 0x3ee1c552, v19
	s_delay_alu instid0(VALU_DEP_3) | instskip(SKIP_3) | instid1(VALU_DEP_2)
	v_dual_add_f32 v19, v18, v9 :: v_dual_add_f32 v20, v23, v20
	v_sub_f32_e32 v9, v9, v18
	v_dual_add_f32 v18, v89, v31 :: v_dual_sub_f32 v23, v30, v88
	v_lshl_add_u32 v88, v116, 2, 0
	v_dual_sub_f32 v69, v105, v107 :: v_dual_add_f32 v30, v18, v22
	v_sub_f32_e32 v31, v22, v18
	v_sub_f32_e32 v18, v18, v25
	v_sub_f32_e32 v22, v25, v22
	s_delay_alu instid0(VALU_DEP_4) | instskip(SKIP_1) | instid1(VALU_DEP_1)
	v_add_f32_e32 v74, v68, v69
	v_dual_add_f32 v25, v30, v25 :: v_dual_sub_f32 v30, v29, v28
	v_dual_mul_f32 v22, 0x3d64c772, v22 :: v_dual_add_f32 v27, v25, v27
	v_add_f32_e32 v56, v28, v29
	v_dual_sub_f32 v29, v23, v29 :: v_dual_sub_f32 v28, v28, v23
	s_delay_alu instid0(VALU_DEP_3) | instskip(NEXT) | instid1(VALU_DEP_3)
	v_dual_fmamk_f32 v25, v25, 0xbf955555, v27 :: v_dual_sub_f32 v14, v20, v21
	v_dual_add_f32 v23, v23, v56 :: v_dual_mul_f32 v56, 0x3f4a47b2, v18
	v_add_f32_e32 v20, v21, v20
	v_dual_add_f32 v21, v24, v4 :: v_dual_add_f32 v4, v95, v77
	v_mul_f32_e32 v30, 0xbf08b237, v30
	v_mul_f32_e32 v57, 0x3f5ff5aa, v28
	v_fmamk_f32 v18, v18, 0x3f4a47b2, v22
	v_fma_f32 v22, 0x3f3bfb3b, v31, -v22
	v_fma_f32 v31, 0xbf3bfb3b, v31, -v56
	v_fmamk_f32 v56, v29, 0x3eae86e6, v30
	v_fma_f32 v28, 0x3f5ff5aa, v28, -v30
	v_fma_f32 v29, 0xbeae86e6, v29, -v57
	v_add_f32_e32 v22, v22, v25
	v_add_f32_e32 v18, v18, v25
	s_delay_alu instid0(VALU_DEP_4) | instskip(NEXT) | instid1(VALU_DEP_4)
	v_dual_add_f32 v25, v31, v25 :: v_dual_fmac_f32 v28, 0x3ee1c552, v23
	v_fmac_f32_e32 v29, 0x3ee1c552, v23
	v_sub_f32_e32 v31, v76, v94
	v_add_f32_e32 v57, v91, v85
	s_delay_alu instid0(VALU_DEP_4) | instskip(SKIP_2) | instid1(VALU_DEP_1)
	v_dual_add_f32 v30, v28, v22 :: v_dual_add_nc_u32 v85, v123, v133
	v_sub_f32_e32 v22, v22, v28
	v_add_f32_e32 v28, v93, v75
	v_add_f32_e32 v62, v4, v28
	v_sub_f32_e32 v63, v28, v4
	v_sub_f32_e32 v4, v4, v57
	v_sub_f32_e32 v24, v25, v29
	v_sub_f32_e32 v28, v57, v28
	v_dual_add_f32 v25, v29, v25 :: v_dual_fmac_f32 v56, 0x3ee1c552, v23
	v_dual_add_f32 v57, v62, v57 :: v_dual_sub_f32 v62, v59, v58
	v_sub_f32_e32 v58, v58, v31
	v_sub_f32_e32 v59, v31, v59
	s_delay_alu instid0(VALU_DEP_3)
	v_dual_add_f32 v31, v31, v64 :: v_dual_add_f32 v64, v57, v67
	v_mul_f32_e32 v28, 0x3d64c772, v28
	v_mul_f32_e32 v65, 0x3f4a47b2, v4
	;; [unrolled: 1-line block ×4, first 2 shown]
	v_fmamk_f32 v57, v57, 0xbf955555, v64
	v_fmamk_f32 v4, v4, 0x3f4a47b2, v28
	v_fma_f32 v28, 0x3f3bfb3b, v63, -v28
	v_fma_f32 v63, 0xbf3bfb3b, v63, -v65
	v_fmamk_f32 v65, v59, 0x3eae86e6, v62
	v_fma_f32 v58, 0x3f5ff5aa, v58, -v62
	v_fma_f32 v59, 0xbeae86e6, v59, -v67
	v_dual_add_f32 v28, v28, v57 :: v_dual_sub_f32 v23, v18, v56
	s_delay_alu instid0(VALU_DEP_4) | instskip(NEXT) | instid1(VALU_DEP_3)
	v_dual_fmac_f32 v65, 0x3ee1c552, v31 :: v_dual_add_f32 v18, v56, v18
	v_fmac_f32_e32 v59, 0x3ee1c552, v31
	v_fmac_f32_e32 v58, 0x3ee1c552, v31
	v_add_f32_e32 v62, v110, v102
	s_delay_alu instid0(VALU_DEP_2) | instskip(SKIP_2) | instid1(VALU_DEP_1)
	v_dual_add_f32 v67, v108, v106 :: v_dual_add_f32 v56, v58, v28
	v_sub_f32_e32 v28, v28, v58
	v_add_f32_e32 v58, v112, v104
	v_add_f32_e32 v70, v58, v62
	v_sub_f32_e32 v71, v62, v58
	v_sub_f32_e32 v58, v58, v67
	v_add_f32_e32 v4, v4, v57
	v_add_f32_e32 v57, v63, v57
	v_sub_f32_e32 v63, v103, v111
	s_delay_alu instid0(VALU_DEP_4) | instskip(NEXT) | instid1(VALU_DEP_4)
	v_mul_f32_e32 v75, 0x3f4a47b2, v58
	v_sub_f32_e32 v29, v4, v65
	s_delay_alu instid0(VALU_DEP_4)
	v_sub_f32_e32 v31, v57, v59
	v_add_f32_e32 v57, v59, v57
	v_dual_add_f32 v59, v65, v4 :: v_dual_sub_f32 v62, v67, v62
	v_dual_add_f32 v67, v70, v67 :: v_dual_sub_f32 v70, v69, v68
	v_dual_sub_f32 v68, v68, v63 :: v_dual_sub_f32 v69, v63, v69
	v_add_f32_e32 v63, v63, v74
	s_delay_alu instid0(VALU_DEP_3) | instskip(SKIP_3) | instid1(VALU_DEP_4)
	v_add_f32_e32 v74, v67, v98
	v_mul_f32_e32 v62, 0x3d64c772, v62
	v_mul_f32_e32 v70, 0xbf08b237, v70
	;; [unrolled: 1-line block ×3, first 2 shown]
	v_fmamk_f32 v67, v67, 0xbf955555, v74
	s_delay_alu instid0(VALU_DEP_4)
	v_fmamk_f32 v58, v58, 0x3f4a47b2, v62
	v_fma_f32 v62, 0x3f3bfb3b, v71, -v62
	v_fma_f32 v71, 0xbf3bfb3b, v71, -v75
	v_fmamk_f32 v75, v69, 0x3eae86e6, v70
	v_fma_f32 v69, 0xbeae86e6, v69, -v76
	v_fma_f32 v68, 0x3f5ff5aa, v68, -v70
	v_add_f32_e32 v58, v58, v67
	v_add_f32_e32 v62, v62, v67
	;; [unrolled: 1-line block ×3, first 2 shown]
	v_fmac_f32_e32 v75, 0x3ee1c552, v63
	v_fmac_f32_e32 v69, 0x3ee1c552, v63
	;; [unrolled: 1-line block ×3, first 2 shown]
	ds_store_2addr_b32 v6, v7, v12 offset1:1
	ds_store_2addr_b32 v6, v13, v15 offset0:2 offset1:3
	ds_store_2addr_b32 v6, v8, v0 offset0:4 offset1:5
	ds_store_b32 v6, v1 offset:24
	ds_store_2addr_b32 v26, v11, v5 offset1:1
	ds_store_2addr_b32 v26, v14, v19 offset0:2 offset1:3
	ds_store_2addr_b32 v26, v9, v20 offset0:4 offset1:5
	ds_store_b32 v26, v21 offset:24
	;; [unrolled: 4-line block ×3, first 2 shown]
	v_add_nc_u32_e32 v0, 0, v135
	v_sub_f32_e32 v63, v58, v75
	v_dual_sub_f32 v65, v67, v69 :: v_dual_add_f32 v70, v68, v62
	v_dual_sub_f32 v62, v62, v68 :: v_dual_add_f32 v71, v69, v67
	v_add_f32_e32 v4, v75, v58
	ds_store_2addr_b32 v10, v64, v29 offset1:1
	ds_store_2addr_b32 v10, v31, v56 offset0:2 offset1:3
	ds_store_2addr_b32 v10, v28, v57 offset0:4 offset1:5
	ds_store_b32 v10, v59 offset:24
	ds_store_2addr_b32 v0, v74, v63 offset1:1
	ds_store_2addr_b32 v0, v65, v70 offset0:2 offset1:3
	ds_store_2addr_b32 v0, v62, v71 offset0:4 offset1:5
	ds_store_b32 v0, v4 offset:24
	s_waitcnt lgkmcnt(0)
	s_barrier
	buffer_gl0_inv
	ds_load_2addr_b32 v[0:1], v117 offset1:175
	ds_load_2addr_b32 v[6:7], v66 offset0:94 offset1:149
	ds_load_2addr_b32 v[8:9], v125 offset0:76 offset1:141
	;; [unrolled: 1-line block ×12, first 2 shown]
	ds_load_2addr_b32 v[62:63], v127 offset1:55
	ds_load_2addr_b32 v[68:69], v128 offset0:94 offset1:149
	ds_load_b32 v75, v85
	ds_load_b32 v76, v84
	ds_load_b32 v77, v117 offset:7440
                                        ; implicit-def: $vgpr26
                                        ; implicit-def: $vgpr22
                                        ; implicit-def: $vgpr19
                                        ; implicit-def: $vgpr25
	s_and_saveexec_b32 s1, s0
	s_cbranch_execz .LBB0_17
; %bb.16:
	v_add_nc_u32_e32 v4, 0x500, v117
	v_add_nc_u32_e32 v18, 0xa00, v117
	;; [unrolled: 1-line block ×5, first 2 shown]
	ds_load_b32 v71, v88
	ds_load_2addr_b32 v[4:5], v4 offset0:20 offset1:195
	ds_load_2addr_b32 v[26:27], v18 offset0:50 offset1:225
	;; [unrolled: 1-line block ×5, first 2 shown]
.LBB0_17:
	s_or_b32 exec_lo, exec_lo, s1
	v_and_b32_e32 v74, 0xff, v113
	v_and_b32_e32 v89, 0xff, v114
	;; [unrolled: 1-line block ×3, first 2 shown]
	s_delay_alu instid0(VALU_DEP_3) | instskip(NEXT) | instid1(VALU_DEP_3)
	v_mul_lo_u16 v74, v74, 37
	v_mul_lo_u16 v89, v89, 37
	s_delay_alu instid0(VALU_DEP_3) | instskip(NEXT) | instid1(VALU_DEP_3)
	v_mul_lo_u16 v90, v70, 37
	v_lshrrev_b16 v74, 8, v74
	s_delay_alu instid0(VALU_DEP_3) | instskip(NEXT) | instid1(VALU_DEP_3)
	v_lshrrev_b16 v89, 8, v89
	v_lshrrev_b16 v90, 8, v90
	s_delay_alu instid0(VALU_DEP_3) | instskip(NEXT) | instid1(VALU_DEP_3)
	v_sub_nc_u16 v91, v113, v74
	v_sub_nc_u16 v92, v114, v89
	s_delay_alu instid0(VALU_DEP_3) | instskip(NEXT) | instid1(VALU_DEP_3)
	v_sub_nc_u16 v93, v115, v90
	v_lshrrev_b16 v91, 1, v91
	s_delay_alu instid0(VALU_DEP_3) | instskip(NEXT) | instid1(VALU_DEP_3)
	v_lshrrev_b16 v92, 1, v92
	v_lshrrev_b16 v93, 1, v93
	s_delay_alu instid0(VALU_DEP_3) | instskip(NEXT) | instid1(VALU_DEP_3)
	v_and_b32_e32 v91, 0x7f, v91
	v_and_b32_e32 v92, 0x7f, v92
	s_delay_alu instid0(VALU_DEP_3) | instskip(NEXT) | instid1(VALU_DEP_3)
	v_and_b32_e32 v93, 0x7f, v93
	v_add_nc_u16 v74, v91, v74
	s_delay_alu instid0(VALU_DEP_3) | instskip(NEXT) | instid1(VALU_DEP_3)
	v_add_nc_u16 v89, v92, v89
	v_add_nc_u16 v90, v93, v90
	s_delay_alu instid0(VALU_DEP_3) | instskip(NEXT) | instid1(VALU_DEP_3)
	v_lshrrev_b16 v128, 2, v74
	v_lshrrev_b16 v126, 2, v89
	s_delay_alu instid0(VALU_DEP_3) | instskip(NEXT) | instid1(VALU_DEP_3)
	v_lshrrev_b16 v123, 2, v90
	v_mul_lo_u16 v74, v128, 7
	s_delay_alu instid0(VALU_DEP_3) | instskip(NEXT) | instid1(VALU_DEP_3)
	v_mul_lo_u16 v89, v126, 7
	v_mul_lo_u16 v90, v123, 7
	s_delay_alu instid0(VALU_DEP_3) | instskip(NEXT) | instid1(VALU_DEP_3)
	v_sub_nc_u16 v74, v113, v74
	v_sub_nc_u16 v89, v114, v89
	s_delay_alu instid0(VALU_DEP_3) | instskip(NEXT) | instid1(VALU_DEP_3)
	v_sub_nc_u16 v90, v115, v90
	v_and_b32_e32 v130, 0xff, v74
	s_delay_alu instid0(VALU_DEP_3) | instskip(NEXT) | instid1(VALU_DEP_3)
	v_and_b32_e32 v127, 0xff, v89
	v_and_b32_e32 v125, 0xff, v90
	s_delay_alu instid0(VALU_DEP_3) | instskip(NEXT) | instid1(VALU_DEP_3)
	v_mul_u32_u24_e32 v74, 10, v130
	v_mul_u32_u24_e32 v89, 10, v127
	s_delay_alu instid0(VALU_DEP_3) | instskip(NEXT) | instid1(VALU_DEP_3)
	v_mul_u32_u24_e32 v90, 10, v125
	v_lshlrev_b32_e32 v93, 3, v74
	s_delay_alu instid0(VALU_DEP_3) | instskip(NEXT) | instid1(VALU_DEP_3)
	v_lshlrev_b32_e32 v94, 3, v89
	v_lshlrev_b32_e32 v95, 3, v90
	s_clause 0x3
	global_load_b128 v[103:106], v93, s[8:9] offset:64
	global_load_b128 v[135:138], v94, s[8:9] offset:64
	;; [unrolled: 1-line block ×4, first 2 shown]
	v_and_b32_e32 v74, 0xff, v116
	s_clause 0x6
	global_load_b128 v[143:146], v93, s[8:9] offset:48
	global_load_b128 v[147:150], v94, s[8:9] offset:48
	;; [unrolled: 1-line block ×7, first 2 shown]
	v_mul_lo_u16 v98, v74, 37
	s_clause 0x1
	global_load_b128 v[171:174], v93, s[8:9] offset:16
	global_load_b128 v[175:178], v93, s[8:9]
	v_lshrrev_b16 v98, 8, v98
	s_delay_alu instid0(VALU_DEP_1) | instskip(NEXT) | instid1(VALU_DEP_1)
	v_sub_nc_u16 v101, v116, v98
	v_lshrrev_b16 v101, 1, v101
	s_delay_alu instid0(VALU_DEP_1)
	v_and_b32_e32 v101, 0x7f, v101
	s_waitcnt vmcnt(12)
	v_dual_mul_f32 v109, v87, v104 :: v_dual_mul_f32 v108, v96, v106
	s_waitcnt vmcnt(10) lgkmcnt(3)
	v_mul_f32_e32 v102, v69, v90
	v_add_nc_u16 v98, v101, v98
	v_mul_f32_e32 v90, v100, v90
	v_mul_f32_e32 v101, v97, v138
	s_waitcnt vmcnt(7)
	v_mul_f32_e32 v112, v59, v150
	v_mul_f32_e32 v111, v58, v146
	v_lshrrev_b16 v133, 2, v98
	v_fmac_f32_e32 v90, v69, v89
	v_mul_f32_e32 v131, v57, v144
	v_mul_f32_e32 v107, v80, v146
	v_fmac_f32_e32 v109, v65, v103
	v_mul_lo_u16 v98, v133, 7
	v_mul_f32_e32 v69, v83, v140
	v_fmac_f32_e32 v101, v67, v137
	v_mul_f32_e32 v110, v63, v140
	s_waitcnt vmcnt(4)
	v_mul_f32_e32 v140, v28, v162
	v_sub_nc_u16 v93, v116, v98
	v_mul_f32_e32 v98, v99, v136
	s_clause 0x1
	global_load_b128 v[179:182], v95, s[8:9]
	global_load_b128 v[183:186], v94, s[8:9]
	v_dual_mul_f32 v94, v65, v104 :: v_dual_mul_f32 v95, v67, v138
	v_mul_f32_e32 v138, v15, v160
	v_and_b32_e32 v134, 0xff, v93
	v_mul_f32_e32 v104, v66, v106
	v_mul_f32_e32 v106, v68, v136
	v_fma_f32 v124, v87, v103, -v94
	v_dual_mul_f32 v87, v72, v156 :: v_dual_mul_f32 v94, v61, v158
	v_mul_u32_u24_e32 v93, 10, v134
	v_fmac_f32_e32 v98, v68, v135
	v_fma_f32 v129, v96, v105, -v104
	v_mul_f32_e32 v67, v78, v154
	v_dual_mul_f32 v103, v45, v160 :: v_dual_mul_f32 v104, v60, v162
	v_lshlrev_b32_e32 v93, 3, v93
	s_clause 0x4
	global_load_b128 v[187:190], v93, s[8:9]
	global_load_b128 v[191:194], v93, s[8:9] offset:16
	global_load_b128 v[195:198], v93, s[8:9] offset:32
	;; [unrolled: 1-line block ×4, first 2 shown]
	s_waitcnt lgkmcnt(0)
	v_mul_f32_e32 v93, v77, v92
	v_mul_f32_e32 v92, v122, v92
	v_fmac_f32_e32 v108, v66, v105
	v_mul_f32_e32 v136, v31, v152
	v_mul_f32_e32 v66, v73, v152
	v_fma_f32 v93, v122, v91, -v93
	v_dual_fmac_f32 v92, v77, v91 :: v_dual_mul_f32 v77, v64, v142
	v_fma_f32 v91, v100, v89, -v102
	v_mul_f32_e32 v89, v86, v142
	v_fma_f32 v102, v97, v137, -v95
	v_mul_f32_e32 v95, v82, v148
	v_fma_f32 v86, v86, v141, -v77
	s_waitcnt vmcnt(7)
	v_dual_mul_f32 v77, v44, v166 :: v_dual_mul_f32 v132, v3, v176
	v_fma_f32 v100, v99, v135, -v106
	v_mul_f32_e32 v99, v62, v148
	v_dual_mul_f32 v97, v81, v150 :: v_dual_mul_f32 v106, v79, v144
	v_mul_f32_e32 v135, v56, v154
	v_dual_mul_f32 v137, v30, v156 :: v_dual_mul_f32 v142, v29, v158
	v_fma_f32 v68, v83, v139, -v110
	v_dual_fmac_f32 v69, v63, v139 :: v_dual_mul_f32 v144, v20, v168
	v_dual_mul_f32 v139, v14, v166 :: v_dual_mul_f32 v148, v1, v176
	v_dual_mul_f32 v83, v49, v164 :: v_dual_mul_f32 v110, v38, v174
	v_fmac_f32_e32 v95, v62, v147
	v_fma_f32 v81, v81, v149, -v112
	v_mul_f32_e32 v112, v35, v172
	v_fma_f32 v122, v80, v145, -v111
	v_fma_f32 v111, v79, v143, -v131
	v_mul_f32_e32 v131, v32, v178
	v_dual_fmac_f32 v77, v14, v165 :: v_dual_fmac_f32 v132, v1, v175
	v_dual_fmac_f32 v89, v64, v141 :: v_dual_mul_f32 v146, v11, v170
	v_dual_mul_f32 v141, v21, v164 :: v_dual_mul_f32 v96, v39, v170
	v_fma_f32 v82, v82, v147, -v99
	v_dual_mul_f32 v99, v48, v168 :: v_dual_fmac_f32 v106, v57, v143
	v_fmac_f32_e32 v97, v59, v149
	v_mul_f32_e32 v147, v10, v174
	v_mul_f32_e32 v149, v9, v172
	v_fmac_f32_e32 v107, v58, v145
	v_dual_mul_f32 v145, v6, v178 :: v_dual_fmac_f32 v66, v31, v151
	v_fma_f32 v65, v78, v153, -v135
	v_fmac_f32_e32 v67, v56, v153
	v_fma_f32 v73, v73, v151, -v136
	v_fma_f32 v31, v72, v155, -v137
	v_fmac_f32_e32 v87, v30, v155
	v_fma_f32 v30, v61, v157, -v142
	v_fma_f32 v14, v49, v163, -v141
	s_waitcnt vmcnt(0)
	s_barrier
	buffer_gl0_inv
	v_fmac_f32_e32 v104, v28, v161
	v_fma_f32 v28, v45, v159, -v138
	v_fmac_f32_e32 v94, v29, v157
	v_fma_f32 v29, v60, v161, -v140
	v_dual_fmac_f32 v110, v10, v173 :: v_dual_fmac_f32 v103, v15, v159
	v_fma_f32 v15, v44, v165, -v139
	v_fmac_f32_e32 v112, v9, v171
	v_fmac_f32_e32 v96, v11, v169
	v_lshlrev_b32_e32 v130, 2, v130
	v_mul_f32_e32 v79, v34, v182
	v_mul_f32_e32 v105, v36, v184
	;; [unrolled: 1-line block ×7, first 2 shown]
	v_dual_mul_f32 v150, v8, v182 :: v_dual_fmac_f32 v83, v21, v163
	v_fma_f32 v21, v48, v167, -v144
	v_fma_f32 v48, v38, v173, -v147
	s_delay_alu instid0(VALU_DEP_4)
	v_fmac_f32_e32 v80, v7, v185
	v_fma_f32 v49, v35, v171, -v149
	v_fmac_f32_e32 v78, v13, v179
	v_fma_f32 v10, v33, v185, -v152
	v_fma_f32 v7, v32, v177, -v145
	v_fma_f32 v9, v34, v181, -v150
	v_dual_mul_f32 v63, v17, v190 :: v_dual_mul_f32 v64, v16, v188
	v_mul_f32_e32 v151, v5, v190
	v_mul_f32_e32 v60, v53, v202
	v_dual_mul_f32 v72, v26, v192 :: v_dual_mul_f32 v137, v27, v194
	v_mul_f32_e32 v56, v50, v196
	v_dual_mul_f32 v142, v22, v196 :: v_dual_mul_f32 v153, v23, v198
	v_dual_mul_f32 v138, v18, v204 :: v_dual_mul_f32 v57, v51, v198
	;; [unrolled: 1-line block ×3, first 2 shown]
	v_mul_f32_e32 v155, v19, v206
	v_mul_f32_e32 v61, v47, v206
	v_dual_fmac_f32 v105, v12, v183 :: v_dual_fmac_f32 v60, v25, v201
	v_dual_fmac_f32 v131, v6, v177 :: v_dual_fmac_f32 v64, v4, v187
	v_fma_f32 v6, v3, v175, -v148
	v_dual_fmac_f32 v63, v5, v189 :: v_dual_fmac_f32 v56, v22, v195
	v_sub_f32_e32 v5, v132, v108
	v_mul_f32_e32 v136, v4, v188
	v_mul_f32_e32 v62, v54, v192
	;; [unrolled: 1-line block ×5, first 2 shown]
	s_delay_alu instid0(VALU_DEP_4)
	v_dual_fmac_f32 v79, v8, v181 :: v_dual_fmac_f32 v62, v26, v191
	v_fma_f32 v8, v37, v179, -v135
	v_fma_f32 v11, v36, v183, -v143
	;; [unrolled: 1-line block ×4, first 2 shown]
	v_dual_fmac_f32 v57, v23, v197 :: v_dual_add_f32 v4, v2, v6
	v_dual_fmac_f32 v59, v24, v199 :: v_dual_add_f32 v12, v7, v124
	v_fmac_f32_e32 v61, v19, v205
	v_dual_add_f32 v1, v6, v129 :: v_dual_sub_f32 v22, v103, v104
	v_sub_f32_e32 v17, v112, v107
	v_dual_sub_f32 v19, v110, v106 :: v_dual_sub_f32 v24, v105, v101
	v_dual_mul_f32 v51, 0xbf0a6770, v5 :: v_dual_add_f32 v4, v4, v7
	v_dual_fmac_f32 v99, v20, v167 :: v_dual_fmac_f32 v58, v27, v193
	v_fma_f32 v20, v39, v169, -v146
	v_fma_f32 v39, v16, v187, -v136
	;; [unrolled: 1-line block ×7, first 2 shown]
	v_dual_fmac_f32 v45, v18, v203 :: v_dual_add_f32 v16, v49, v122
	v_dual_sub_f32 v13, v131, v109 :: v_dual_sub_f32 v26, v80, v98
	v_dual_add_f32 v25, v11, v102 :: v_dual_mul_f32 v52, 0xbf68dda4, v5
	v_dual_add_f32 v27, v10, v100 :: v_dual_mul_f32 v54, 0xbf4178ce, v5
	v_add_f32_e32 v46, v121, v11
	v_add_f32_e32 v50, v21, v81
	v_mul_f32_e32 v53, 0xbf7d64f0, v5
	v_dual_mul_f32 v140, 0xbf0a6770, v17 :: v_dual_mul_f32 v143, 0xbf0a6770, v19
	v_fma_f32 v158, 0x3f575c64, v1, -v51
	v_fmac_f32_e32 v51, 0x3f575c64, v1
	v_fma_f32 v33, v55, v193, -v137
	v_fma_f32 v44, v47, v205, -v155
	v_add_f32_e32 v18, v48, v111
	v_dual_add_f32 v23, v28, v29 :: v_dual_mul_f32 v142, 0x3f7d64f0, v19
	v_dual_sub_f32 v47, v99, v97 :: v_dual_mul_f32 v144, 0xbe903f40, v19
	v_mul_f32_e32 v5, 0xbe903f40, v5
	v_dual_mul_f32 v55, 0xbf68dda4, v13 :: v_dual_mul_f32 v150, 0xbf68dda4, v24
	v_dual_mul_f32 v72, 0xbf4178ce, v13 :: v_dual_mul_f32 v141, 0xbf4178ce, v19
	v_dual_mul_f32 v135, 0x3e903f40, v13 :: v_dual_add_f32 v46, v46, v10
	v_mul_f32_e32 v137, 0xbf7d64f0, v17
	v_dual_mul_f32 v138, 0x3e903f40, v17 :: v_dual_mul_f32 v155, 0x3e903f40, v26
	v_dual_mul_f32 v139, 0x3f68dda4, v17 :: v_dual_mul_f32 v148, 0x3f68dda4, v22
	;; [unrolled: 1-line block ×3, first 2 shown]
	v_dual_mul_f32 v19, 0x3f68dda4, v19 :: v_dual_add_f32 v4, v4, v49
	v_mul_f32_e32 v146, 0x3f0a6770, v22
	v_fma_f32 v159, 0x3ed4b147, v1, -v52
	v_mul_f32_e32 v145, 0xbe903f40, v22
	v_fmac_f32_e32 v52, 0x3ed4b147, v1
	v_mul_f32_e32 v147, 0xbf4178ce, v22
	v_mul_f32_e32 v22, 0xbf7d64f0, v22
	v_fma_f32 v160, 0xbe11bafb, v1, -v53
	v_fma_f32 v161, 0xbf27a4f4, v1, -v54
	v_mul_f32_e32 v149, 0xbf0a6770, v24
	v_fmac_f32_e32 v54, 0xbf27a4f4, v1
	v_fma_f32 v169, 0x3f575c64, v16, -v140
	v_fmac_f32_e32 v140, 0x3f575c64, v16
	v_dual_mul_f32 v136, 0x3f7d64f0, v13 :: v_dual_add_f32 v51, v2, v51
	v_mul_f32_e32 v13, 0x3f0a6770, v13
	v_fmac_f32_e32 v53, 0xbe11bafb, v1
	v_mul_f32_e32 v154, 0xbf4178ce, v26
	v_mul_f32_e32 v156, 0x3f7d64f0, v26
	v_fma_f32 v163, 0xbf27a4f4, v12, -v72
	v_fmac_f32_e32 v72, 0xbf27a4f4, v12
	v_fma_f32 v164, 0xbf75a155, v12, -v135
	v_fmac_f32_e32 v135, 0xbf75a155, v12
	;; [unrolled: 2-line block ×7, first 2 shown]
	v_dual_mul_f32 v151, 0xbf7d64f0, v24 :: v_dual_add_f32 v54, v2, v54
	v_mul_f32_e32 v24, 0xbe903f40, v24
	v_fma_f32 v162, 0xbf75a155, v1, -v5
	v_fmac_f32_e32 v5, 0xbf75a155, v1
	v_mul_f32_e32 v153, 0xbf68dda4, v26
	v_dual_mul_f32 v26, 0x3f0a6770, v26 :: v_dual_add_f32 v53, v2, v53
	v_fma_f32 v1, 0x3ed4b147, v12, -v55
	v_fmac_f32_e32 v55, 0x3ed4b147, v12
	v_fma_f32 v12, 0xbe11bafb, v16, -v137
	v_fmac_f32_e32 v137, 0xbe11bafb, v16
	v_fma_f32 v16, 0xbf27a4f4, v18, -v141
	v_fmac_f32_e32 v141, 0xbf27a4f4, v18
	v_fma_f32 v171, 0xbe11bafb, v18, -v142
	v_fmac_f32_e32 v142, 0xbe11bafb, v18
	v_fma_f32 v172, 0x3f575c64, v18, -v143
	v_fmac_f32_e32 v143, 0x3f575c64, v18
	v_fma_f32 v173, 0xbf75a155, v18, -v144
	v_fmac_f32_e32 v144, 0xbf75a155, v18
	v_fma_f32 v174, 0x3ed4b147, v18, -v19
	v_fmac_f32_e32 v19, 0x3ed4b147, v18
	v_fma_f32 v18, 0xbf75a155, v23, -v145
	v_fmac_f32_e32 v145, 0xbf75a155, v23
	v_fma_f32 v175, 0x3f575c64, v23, -v146
	v_fmac_f32_e32 v146, 0x3f575c64, v23
	v_fma_f32 v177, 0x3ed4b147, v23, -v148
	v_fmac_f32_e32 v148, 0x3ed4b147, v23
	v_fma_f32 v178, 0xbe11bafb, v23, -v22
	v_fmac_f32_e32 v22, 0xbe11bafb, v23
	v_add_f32_e32 v52, v2, v52
	v_fma_f32 v176, 0xbf27a4f4, v23, -v147
	v_fmac_f32_e32 v147, 0xbf27a4f4, v23
	v_fma_f32 v23, 0x3f575c64, v25, -v149
	v_fma_f32 v179, 0x3ed4b147, v25, -v150
	v_fmac_f32_e32 v150, 0x3ed4b147, v25
	v_fma_f32 v180, 0xbe11bafb, v25, -v151
	v_fmac_f32_e32 v149, 0x3f575c64, v25
	v_fmac_f32_e32 v151, 0xbe11bafb, v25
	v_fma_f32 v181, 0xbf27a4f4, v25, -v152
	v_fmac_f32_e32 v152, 0xbf27a4f4, v25
	v_fma_f32 v182, 0xbf75a155, v25, -v24
	;; [unrolled: 2-line block ×3, first 2 shown]
	s_delay_alu instid0(VALU_DEP_4)
	v_dual_fmac_f32 v153, 0x3ed4b147, v27 :: v_dual_add_f32 v152, v121, v152
	v_fma_f32 v183, 0xbf27a4f4, v27, -v154
	v_fmac_f32_e32 v154, 0xbf27a4f4, v27
	v_fma_f32 v184, 0xbf75a155, v27, -v155
	v_fmac_f32_e32 v155, 0xbf75a155, v27
	;; [unrolled: 2-line block ×3, first 2 shown]
	v_fma_f32 v186, 0x3f575c64, v27, -v26
	v_dual_fmac_f32 v26, 0x3f575c64, v27 :: v_dual_add_f32 v27, v46, v21
	v_add_f32_e32 v46, v2, v158
	v_add_f32_e32 v158, v2, v159
	;; [unrolled: 1-line block ×5, first 2 shown]
	v_dual_add_f32 v2, v2, v5 :: v_dual_add_f32 v5, v121, v23
	v_dual_add_f32 v4, v4, v48 :: v_dual_mul_f32 v157, 0xbf7d64f0, v47
	v_dual_add_f32 v150, v121, v150 :: v_dual_add_f32 v27, v27, v20
	s_delay_alu instid0(VALU_DEP_3) | instskip(NEXT) | instid1(VALU_DEP_3)
	v_dual_add_f32 v2, v13, v2 :: v_dual_add_f32 v53, v135, v53
	v_add_f32_e32 v4, v4, v28
	v_add_f32_e32 v162, v121, v180
	v_add_f32_e32 v23, v121, v149
	v_dual_add_f32 v149, v121, v179 :: v_dual_add_f32 v52, v72, v52
	v_dual_add_f32 v151, v121, v151 :: v_dual_add_f32 v54, v136, v54
	v_add_f32_e32 v179, v121, v181
	v_add_f32_e32 v180, v121, v182
	;; [unrolled: 1-line block ×3, first 2 shown]
	s_delay_alu instid0(VALU_DEP_4)
	v_dual_add_f32 v1, v1, v46 :: v_dual_add_f32 v136, v155, v151
	v_add_f32_e32 v46, v55, v51
	v_add_f32_e32 v51, v163, v158
	v_dual_add_f32 v55, v164, v159 :: v_dual_add_f32 v72, v165, v160
	v_add_f32_e32 v5, v25, v5
	v_dual_add_f32 v25, v154, v150 :: v_dual_add_f32 v4, v4, v29
	v_dual_add_f32 v27, v27, v31 :: v_dual_add_f32 v2, v17, v2
	v_add_f32_e32 v121, v166, v161
	v_dual_add_f32 v13, v153, v23 :: v_dual_add_f32 v54, v140, v54
	v_add_f32_e32 v23, v183, v149
	v_dual_add_f32 v1, v12, v1 :: v_dual_add_f32 v12, v137, v46
	v_dual_add_f32 v46, v167, v51 :: v_dual_add_f32 v51, v138, v52
	v_add_f32_e32 v4, v4, v111
	v_dual_add_f32 v52, v168, v55 :: v_dual_add_f32 v55, v169, v72
	v_add_f32_e32 v2, v19, v2
	v_add_f32_e32 v17, v27, v30
	v_dual_add_f32 v135, v184, v162 :: v_dual_add_f32 v72, v170, v121
	v_add_f32_e32 v149, v185, v179
	v_dual_add_f32 v53, v139, v53 :: v_dual_add_f32 v12, v141, v12
	v_dual_add_f32 v1, v16, v1 :: v_dual_add_f32 v16, v171, v46
	;; [unrolled: 1-line block ×3, first 2 shown]
	v_add_f32_e32 v46, v172, v52
	v_add_f32_e32 v52, v173, v55
	;; [unrolled: 1-line block ×3, first 2 shown]
	v_dual_add_f32 v51, v143, v53 :: v_dual_add_f32 v12, v145, v12
	v_dual_add_f32 v53, v144, v54 :: v_dual_add_f32 v16, v175, v16
	v_add_f32_e32 v54, v174, v72
	v_add_f32_e32 v1, v18, v1
	v_dual_add_f32 v18, v146, v27 :: v_dual_add_f32 v17, v17, v81
	v_add_f32_e32 v4, v4, v124
	v_dual_add_f32 v19, v176, v46 :: v_dual_add_f32 v24, v26, v24
	v_dual_add_f32 v27, v147, v51 :: v_dual_add_f32 v46, v177, v52
	s_delay_alu instid0(VALU_DEP_4)
	v_dual_add_f32 v52, v178, v54 :: v_dual_add_f32 v17, v17, v100
	v_dual_add_f32 v2, v22, v2 :: v_dual_add_f32 v51, v148, v53
	v_mul_f32_e32 v26, 0x3f68dda4, v47
	v_dual_add_f32 v22, v156, v152 :: v_dual_mul_f32 v55, 0x3e903f40, v47
	v_fma_f32 v54, 0xbe11bafb, v50, -v157
	v_add_f32_e32 v53, v186, v180
	s_delay_alu instid0(VALU_DEP_4) | instskip(SKIP_4) | instid1(VALU_DEP_4)
	v_fma_f32 v72, 0x3ed4b147, v50, -v26
	v_fmac_f32_e32 v26, 0x3ed4b147, v50
	v_fmac_f32_e32 v157, 0xbe11bafb, v50
	v_add_f32_e32 v5, v54, v5
	v_fma_f32 v54, 0xbf75a155, v50, -v55
	v_dual_fmac_f32 v55, 0xbf75a155, v50 :: v_dual_add_f32 v26, v26, v136
	v_add_f32_e32 v144, v9, v91
	v_sub_f32_e32 v142, v79, v90
	v_dual_add_f32 v4, v4, v129 :: v_dual_add_f32 v17, v17, v102
	s_delay_alu instid0(VALU_DEP_4)
	v_add_f32_e32 v25, v55, v25
	v_add_f32_e32 v55, v72, v135
	v_sub_f32_e32 v72, v96, v95
	v_add_f32_e32 v23, v54, v23
	v_dual_mul_f32 v54, 0xbf0a6770, v47 :: v_dual_add_f32 v13, v157, v13
	v_mul_f32_e32 v145, 0xbf68dda4, v142
	s_delay_alu instid0(VALU_DEP_4) | instskip(NEXT) | instid1(VALU_DEP_3)
	v_mul_f32_e32 v136, 0xbf4178ce, v72
	v_fma_f32 v121, 0x3f575c64, v50, -v54
	v_fmac_f32_e32 v54, 0x3f575c64, v50
	s_delay_alu instid0(VALU_DEP_4) | instskip(SKIP_1) | instid1(VALU_DEP_4)
	v_fma_f32 v146, 0x3ed4b147, v144, -v145
	v_fmac_f32_e32 v145, 0x3ed4b147, v144
	v_add_f32_e32 v121, v121, v149
	s_delay_alu instid0(VALU_DEP_4) | instskip(SKIP_1) | instid1(VALU_DEP_2)
	v_dual_mul_f32 v47, 0xbf4178ce, v47 :: v_dual_add_f32 v22, v54, v22
	v_mul_f32_e32 v54, 0x3f7d64f0, v72
	v_fma_f32 v137, 0xbf27a4f4, v50, -v47
	v_fmac_f32_e32 v47, 0xbf27a4f4, v50
	s_delay_alu instid0(VALU_DEP_1) | instskip(NEXT) | instid1(VALU_DEP_1)
	v_dual_add_f32 v135, v20, v82 :: v_dual_add_f32 v24, v47, v24
	v_fma_f32 v50, 0xbf27a4f4, v135, -v136
	s_delay_alu instid0(VALU_DEP_4) | instskip(NEXT) | instid1(VALU_DEP_2)
	v_dual_fmac_f32 v136, 0xbf27a4f4, v135 :: v_dual_add_f32 v53, v137, v53
	v_add_f32_e32 v5, v50, v5
	s_delay_alu instid0(VALU_DEP_2) | instskip(SKIP_2) | instid1(VALU_DEP_2)
	v_add_f32_e32 v13, v136, v13
	v_fma_f32 v50, 0xbe11bafb, v135, -v54
	v_fmac_f32_e32 v54, 0xbe11bafb, v135
	v_dual_mul_f32 v136, 0xbe903f40, v72 :: v_dual_add_f32 v23, v50, v23
	s_delay_alu instid0(VALU_DEP_2) | instskip(NEXT) | instid1(VALU_DEP_2)
	v_add_f32_e32 v25, v54, v25
	v_fma_f32 v50, 0xbf75a155, v135, -v136
	v_fmac_f32_e32 v136, 0xbf75a155, v135
	s_delay_alu instid0(VALU_DEP_2) | instskip(NEXT) | instid1(VALU_DEP_2)
	v_dual_mul_f32 v47, 0xbf0a6770, v72 :: v_dual_add_f32 v50, v50, v121
	v_add_f32_e32 v22, v136, v22
	s_delay_alu instid0(VALU_DEP_2) | instskip(SKIP_1) | instid1(VALU_DEP_2)
	v_fma_f32 v137, 0x3f575c64, v135, -v47
	v_dual_fmac_f32 v47, 0x3f575c64, v135 :: v_dual_add_f32 v136, v31, v30
	v_add_f32_e32 v54, v137, v55
	s_delay_alu instid0(VALU_DEP_2) | instskip(SKIP_1) | instid1(VALU_DEP_1)
	v_dual_add_f32 v26, v47, v26 :: v_dual_mul_f32 v47, 0x3f68dda4, v72
	v_add_f32_e32 v72, v120, v8
	v_add_f32_e32 v72, v72, v9
	s_delay_alu instid0(VALU_DEP_3) | instskip(NEXT) | instid1(VALU_DEP_2)
	v_fma_f32 v121, 0x3ed4b147, v135, -v47
	v_dual_fmac_f32 v47, 0x3ed4b147, v135 :: v_dual_add_f32 v72, v72, v14
	v_sub_f32_e32 v55, v87, v94
	s_delay_alu instid0(VALU_DEP_2) | instskip(NEXT) | instid1(VALU_DEP_3)
	v_dual_add_f32 v53, v121, v53 :: v_dual_add_f32 v24, v47, v24
	v_add_f32_e32 v72, v72, v15
	s_delay_alu instid0(VALU_DEP_3) | instskip(NEXT) | instid1(VALU_DEP_1)
	v_mul_f32_e32 v137, 0xbe903f40, v55
	v_fma_f32 v135, 0xbf75a155, v136, -v137
	v_fmac_f32_e32 v137, 0xbf75a155, v136
	s_delay_alu instid0(VALU_DEP_2) | instskip(SKIP_1) | instid1(VALU_DEP_3)
	v_add_f32_e32 v5, v135, v5
	v_mul_f32_e32 v135, 0xbf4178ce, v55
	v_add_f32_e32 v13, v137, v13
	s_delay_alu instid0(VALU_DEP_2) | instskip(SKIP_1) | instid1(VALU_DEP_2)
	v_fma_f32 v137, 0xbf27a4f4, v136, -v135
	v_fmac_f32_e32 v135, 0xbf27a4f4, v136
	v_dual_mul_f32 v121, 0x3f0a6770, v55 :: v_dual_add_f32 v54, v137, v54
	s_delay_alu instid0(VALU_DEP_2) | instskip(NEXT) | instid1(VALU_DEP_2)
	v_add_f32_e32 v26, v135, v26
	v_fma_f32 v47, 0x3f575c64, v136, -v121
	v_add_f32_e32 v137, v8, v93
	v_fmac_f32_e32 v121, 0x3f575c64, v136
	s_delay_alu instid0(VALU_DEP_3) | instskip(SKIP_1) | instid1(VALU_DEP_3)
	v_add_f32_e32 v23, v47, v23
	v_dual_add_f32 v47, v72, v73 :: v_dual_mul_f32 v72, 0x3f68dda4, v55
	v_add_f32_e32 v25, v121, v25
	s_delay_alu instid0(VALU_DEP_2) | instskip(SKIP_1) | instid1(VALU_DEP_2)
	v_fma_f32 v121, 0x3ed4b147, v136, -v72
	v_fmac_f32_e32 v72, 0x3ed4b147, v136
	v_dual_add_f32 v50, v121, v50 :: v_dual_sub_f32 v121, v78, v92
	s_delay_alu instid0(VALU_DEP_2) | instskip(NEXT) | instid1(VALU_DEP_2)
	v_dual_mul_f32 v55, 0xbf7d64f0, v55 :: v_dual_add_f32 v22, v72, v22
	v_mul_f32_e32 v138, 0xbf0a6770, v121
	s_delay_alu instid0(VALU_DEP_2) | instskip(SKIP_2) | instid1(VALU_DEP_4)
	v_fma_f32 v135, 0xbe11bafb, v136, -v55
	v_fmac_f32_e32 v55, 0xbe11bafb, v136
	v_mul_f32_e32 v139, 0xbf4178ce, v121
	v_fma_f32 v72, 0x3f575c64, v137, -v138
	v_fmac_f32_e32 v138, 0x3f575c64, v137
	s_delay_alu instid0(VALU_DEP_4) | instskip(SKIP_4) | instid1(VALU_DEP_4)
	v_add_f32_e32 v24, v55, v24
	v_add_f32_e32 v47, v47, v65
	v_mul_f32_e32 v55, 0xbf68dda4, v121
	v_fma_f32 v141, 0xbf27a4f4, v137, -v139
	v_dual_add_f32 v138, v120, v138 :: v_dual_add_f32 v53, v135, v53
	v_add_f32_e32 v47, v47, v68
	v_fmac_f32_e32 v139, 0xbf27a4f4, v137
	v_fma_f32 v136, 0x3ed4b147, v137, -v55
	s_delay_alu instid0(VALU_DEP_4) | instskip(NEXT) | instid1(VALU_DEP_2)
	v_add_f32_e32 v138, v145, v138
	v_dual_add_f32 v47, v47, v86 :: v_dual_add_f32 v136, v120, v136
	s_delay_alu instid0(VALU_DEP_1) | instskip(NEXT) | instid1(VALU_DEP_1)
	v_add_f32_e32 v47, v47, v91
	v_add_f32_e32 v135, v47, v93
	v_dual_add_f32 v47, v120, v72 :: v_dual_mul_f32 v72, 0xbf7d64f0, v121
	v_mul_f32_e32 v121, 0xbe903f40, v121
	s_delay_alu instid0(VALU_DEP_2) | instskip(SKIP_1) | instid1(VALU_DEP_3)
	v_fma_f32 v140, 0xbe11bafb, v137, -v72
	v_fmac_f32_e32 v72, 0xbe11bafb, v137
	v_fma_f32 v143, 0xbf75a155, v137, -v121
	s_delay_alu instid0(VALU_DEP_3) | instskip(NEXT) | instid1(VALU_DEP_3)
	v_dual_fmac_f32 v121, 0xbf75a155, v137 :: v_dual_add_f32 v140, v120, v140
	v_dual_add_f32 v72, v120, v72 :: v_dual_fmac_f32 v55, 0x3ed4b147, v137
	v_add_f32_e32 v137, v120, v139
	s_delay_alu instid0(VALU_DEP_4) | instskip(SKIP_1) | instid1(VALU_DEP_4)
	v_add_f32_e32 v139, v120, v143
	v_mul_f32_e32 v143, 0xbf4178ce, v142
	v_add_f32_e32 v55, v120, v55
	s_delay_alu instid0(VALU_DEP_2) | instskip(SKIP_1) | instid1(VALU_DEP_2)
	v_fma_f32 v147, 0xbf27a4f4, v144, -v143
	v_fmac_f32_e32 v143, 0xbf27a4f4, v144
	v_dual_add_f32 v136, v147, v136 :: v_dual_add_f32 v147, v14, v86
	v_add_f32_e32 v141, v120, v141
	v_dual_add_f32 v120, v120, v121 :: v_dual_mul_f32 v121, 0x3e903f40, v142
	s_delay_alu instid0(VALU_DEP_4) | instskip(SKIP_2) | instid1(VALU_DEP_4)
	v_add_f32_e32 v55, v143, v55
	v_mul_f32_e32 v143, 0x3f7d64f0, v142
	v_mul_f32_e32 v142, 0x3f0a6770, v142
	v_fma_f32 v145, 0xbf75a155, v144, -v121
	v_fmac_f32_e32 v121, 0xbf75a155, v144
	s_delay_alu instid0(VALU_DEP_2) | instskip(NEXT) | instid1(VALU_DEP_2)
	v_add_f32_e32 v140, v145, v140
	v_dual_add_f32 v72, v121, v72 :: v_dual_sub_f32 v121, v83, v89
	v_fma_f32 v145, 0xbe11bafb, v144, -v143
	v_fmac_f32_e32 v143, 0xbe11bafb, v144
	s_delay_alu instid0(VALU_DEP_3)
	v_dual_mul_f32 v148, 0xbf7d64f0, v121 :: v_dual_add_f32 v47, v146, v47
	v_fma_f32 v146, 0x3f575c64, v144, -v142
	v_fmac_f32_e32 v142, 0x3f575c64, v144
	v_mul_f32_e32 v144, 0x3e903f40, v121
	v_add_f32_e32 v137, v143, v137
	v_fma_f32 v143, 0xbe11bafb, v147, -v148
	v_fmac_f32_e32 v148, 0xbe11bafb, v147
	v_add_f32_e32 v120, v142, v120
	v_mul_f32_e32 v142, 0x3f68dda4, v121
	s_delay_alu instid0(VALU_DEP_3) | instskip(NEXT) | instid1(VALU_DEP_2)
	v_dual_add_f32 v141, v145, v141 :: v_dual_add_f32 v138, v148, v138
	v_fma_f32 v145, 0x3ed4b147, v147, -v142
	v_fmac_f32_e32 v142, 0x3ed4b147, v147
	s_delay_alu instid0(VALU_DEP_2) | instskip(NEXT) | instid1(VALU_DEP_2)
	v_add_f32_e32 v140, v145, v140
	v_add_f32_e32 v72, v142, v72
	v_dual_sub_f32 v142, v77, v69 :: v_dual_add_f32 v139, v146, v139
	s_delay_alu instid0(VALU_DEP_1) | instskip(SKIP_3) | instid1(VALU_DEP_2)
	v_dual_add_f32 v145, v15, v68 :: v_dual_mul_f32 v146, 0xbf4178ce, v142
	v_add_f32_e32 v47, v143, v47
	v_fma_f32 v143, 0xbf75a155, v147, -v144
	v_fmac_f32_e32 v144, 0xbf75a155, v147
	v_dual_add_f32 v136, v143, v136 :: v_dual_mul_f32 v143, 0xbf0a6770, v121
	s_delay_alu instid0(VALU_DEP_2) | instskip(NEXT) | instid1(VALU_DEP_2)
	v_add_f32_e32 v55, v144, v55
	v_fma_f32 v144, 0x3f575c64, v147, -v143
	v_fmac_f32_e32 v143, 0x3f575c64, v147
	s_delay_alu instid0(VALU_DEP_2) | instskip(NEXT) | instid1(VALU_DEP_2)
	v_add_f32_e32 v141, v144, v141
	v_add_f32_e32 v137, v143, v137
	v_fma_f32 v143, 0xbf27a4f4, v145, -v146
	v_mul_f32_e32 v144, 0x3f7d64f0, v142
	s_delay_alu instid0(VALU_DEP_2) | instskip(NEXT) | instid1(VALU_DEP_2)
	v_dual_fmac_f32 v146, 0xbf27a4f4, v145 :: v_dual_add_f32 v47, v143, v47
	v_fma_f32 v143, 0xbe11bafb, v145, -v144
	s_delay_alu instid0(VALU_DEP_2) | instskip(SKIP_1) | instid1(VALU_DEP_3)
	v_add_f32_e32 v138, v146, v138
	v_mul_f32_e32 v146, 0xbe903f40, v142
	v_dual_mul_f32 v121, 0xbf4178ce, v121 :: v_dual_add_f32 v136, v143, v136
	s_delay_alu instid0(VALU_DEP_2) | instskip(NEXT) | instid1(VALU_DEP_2)
	v_fma_f32 v143, 0xbf75a155, v145, -v146
	v_fma_f32 v148, 0xbf27a4f4, v147, -v121
	v_fmac_f32_e32 v121, 0xbf27a4f4, v147
	s_delay_alu instid0(VALU_DEP_1) | instskip(SKIP_2) | instid1(VALU_DEP_2)
	v_dual_add_f32 v141, v143, v141 :: v_dual_add_f32 v120, v121, v120
	v_mul_f32_e32 v121, 0xbf0a6770, v142
	v_mul_f32_e32 v142, 0x3f68dda4, v142
	v_fma_f32 v147, 0x3f575c64, v145, -v121
	v_fmac_f32_e32 v121, 0x3f575c64, v145
	s_delay_alu instid0(VALU_DEP_3) | instskip(SKIP_1) | instid1(VALU_DEP_4)
	v_fma_f32 v143, 0x3ed4b147, v145, -v142
	v_fmac_f32_e32 v142, 0x3ed4b147, v145
	v_add_f32_e32 v140, v147, v140
	s_delay_alu instid0(VALU_DEP_4) | instskip(SKIP_1) | instid1(VALU_DEP_2)
	v_dual_add_f32 v72, v121, v72 :: v_dual_add_f32 v139, v148, v139
	v_sub_f32_e32 v121, v66, v67
	v_dual_add_f32 v120, v142, v120 :: v_dual_add_f32 v139, v143, v139
	s_delay_alu instid0(VALU_DEP_2) | instskip(SKIP_4) | instid1(VALU_DEP_4)
	v_mul_f32_e32 v142, 0xbf4178ce, v121
	v_fmac_f32_e32 v144, 0xbe11bafb, v145
	v_mul_f32_e32 v147, 0xbe903f40, v121
	v_fmac_f32_e32 v146, 0xbf75a155, v145
	v_mul_f32_e32 v143, 0x3f0a6770, v121
	v_dual_add_f32 v55, v144, v55 :: v_dual_add_f32 v144, v73, v65
	s_delay_alu instid0(VALU_DEP_1) | instskip(SKIP_1) | instid1(VALU_DEP_2)
	v_fma_f32 v145, 0xbf75a155, v144, -v147
	v_fmac_f32_e32 v147, 0xbf75a155, v144
	v_add_f32_e32 v145, v145, v47
	v_fma_f32 v47, 0xbf27a4f4, v144, -v142
	v_fmac_f32_e32 v142, 0xbf27a4f4, v144
	s_delay_alu instid0(VALU_DEP_4) | instskip(NEXT) | instid1(VALU_DEP_3)
	v_add_f32_e32 v138, v147, v138
	v_add_f32_e32 v140, v47, v140
	s_delay_alu instid0(VALU_DEP_3) | instskip(SKIP_3) | instid1(VALU_DEP_2)
	v_add_f32_e32 v72, v142, v72
	v_add_f32_e32 v137, v146, v137
	v_fma_f32 v146, 0x3f575c64, v144, -v143
	v_fmac_f32_e32 v143, 0x3f575c64, v144
	v_dual_mul_f32 v47, 0xbf7d64f0, v121 :: v_dual_add_f32 v136, v146, v136
	s_delay_alu instid0(VALU_DEP_2) | instskip(SKIP_2) | instid1(VALU_DEP_4)
	v_add_f32_e32 v55, v143, v55
	v_mul_f32_e32 v143, 0x3f68dda4, v121
	v_and_b32_e32 v121, 0xffff, v128
	v_fma_f32 v142, 0xbe11bafb, v144, -v47
	v_fmac_f32_e32 v47, 0xbe11bafb, v144
	s_delay_alu instid0(VALU_DEP_4) | instskip(NEXT) | instid1(VALU_DEP_4)
	v_fma_f32 v128, 0x3ed4b147, v144, -v143
	v_mul_u32_u24_e32 v121, 0x134, v121
	s_delay_alu instid0(VALU_DEP_2) | instskip(NEXT) | instid1(VALU_DEP_4)
	v_dual_fmac_f32 v143, 0x3ed4b147, v144 :: v_dual_add_f32 v128, v128, v141
	v_dual_add_f32 v141, v47, v120 :: v_dual_and_b32 v120, 0xffff, v126
	s_delay_alu instid0(VALU_DEP_3) | instskip(SKIP_1) | instid1(VALU_DEP_4)
	v_add3_u32 v47, 0, v121, v130
	v_and_b32_e32 v121, 0xffff, v123
	v_add_f32_e32 v137, v143, v137
	ds_store_2addr_b32 v47, v4, v1 offset1:7
	v_mul_u32_u24_e32 v1, 0x134, v120
	v_lshlrev_b32_e32 v4, 2, v127
	ds_store_2addr_b32 v47, v16, v19 offset0:14 offset1:21
	ds_store_2addr_b32 v47, v46, v52 offset0:28 offset1:35
	;; [unrolled: 1-line block ×3, first 2 shown]
	v_lshlrev_b32_e32 v2, 2, v125
	v_dual_add_f32 v139, v142, v139 :: v_dual_and_b32 v46, 0xffff, v133
	v_add3_u32 v120, 0, v1, v4
	v_mul_u32_u24_e32 v1, 0x134, v121
	ds_store_2addr_b32 v47, v27, v18 offset0:56 offset1:63
	ds_store_b32 v47, v12 offset:280
	ds_store_2addr_b32 v120, v17, v5 offset1:7
	ds_store_2addr_b32 v120, v23, v54 offset0:14 offset1:21
	v_add3_u32 v121, 0, v1, v2
	v_lshlrev_b32_e32 v2, 2, v134
	ds_store_2addr_b32 v120, v50, v53 offset0:28 offset1:35
	ds_store_2addr_b32 v120, v24, v22 offset0:42 offset1:49
	;; [unrolled: 1-line block ×3, first 2 shown]
	ds_store_b32 v120, v13 offset:280
	ds_store_2addr_b32 v121, v135, v145 offset1:7
	ds_store_2addr_b32 v121, v136, v140 offset0:14 offset1:21
	ds_store_2addr_b32 v121, v128, v139 offset0:28 offset1:35
	;; [unrolled: 1-line block ×4, first 2 shown]
	ds_store_b32 v121, v138 offset:280
	s_and_saveexec_b32 s1, s0
	s_cbranch_execz .LBB0_19
; %bb.18:
	v_dual_sub_f32 v1, v64, v61 :: v_dual_add_f32 v4, v39, v44
	v_dual_add_f32 v5, v37, v38 :: v_dual_sub_f32 v12, v63, v45
	s_delay_alu instid0(VALU_DEP_2) | instskip(SKIP_1) | instid1(VALU_DEP_3)
	v_dual_add_f32 v13, v35, v36 :: v_dual_mul_f32 v16, 0xbe903f40, v1
	v_dual_sub_f32 v17, v62, v60 :: v_dual_add_f32 v18, v33, v34
	v_dual_sub_f32 v19, v58, v59 :: v_dual_mul_f32 v22, 0x3f0a6770, v12
	s_delay_alu instid0(VALU_DEP_3) | instskip(SKIP_1) | instid1(VALU_DEP_3)
	v_dual_fmamk_f32 v23, v4, 0xbf75a155, v16 :: v_dual_add_f32 v24, v3, v32
	v_fma_f32 v16, 0xbf75a155, v4, -v16
	v_dual_sub_f32 v25, v56, v57 :: v_dual_mul_f32 v50, 0x3f68dda4, v19
	s_delay_alu instid0(VALU_DEP_3) | instskip(NEXT) | instid1(VALU_DEP_3)
	v_dual_mul_f32 v26, 0xbf4178ce, v17 :: v_dual_add_f32 v23, v119, v23
	v_dual_fmamk_f32 v27, v5, 0x3f575c64, v22 :: v_dual_add_f32 v16, v119, v16
	v_fma_f32 v22, 0x3f575c64, v5, -v22
	s_delay_alu instid0(VALU_DEP_4) | instskip(NEXT) | instid1(VALU_DEP_3)
	v_mul_f32_e32 v51, 0xbf7d64f0, v25
	v_dual_mul_f32 v52, 0xbf4178ce, v1 :: v_dual_add_f32 v23, v27, v23
	v_dual_mul_f32 v72, 0xbf4178ce, v12 :: v_dual_add_f32 v125, v119, v39
	s_delay_alu instid0(VALU_DEP_4) | instskip(SKIP_2) | instid1(VALU_DEP_2)
	v_dual_add_f32 v16, v22, v16 :: v_dual_fmamk_f32 v53, v13, 0xbf27a4f4, v26
	v_fma_f32 v26, 0xbf27a4f4, v13, -v26
	v_mul_f32_e32 v22, 0xbf0a6770, v17
	v_dual_mul_f32 v123, 0x3e903f40, v17 :: v_dual_add_f32 v16, v26, v16
	s_delay_alu instid0(VALU_DEP_4) | instskip(SKIP_4) | instid1(VALU_DEP_4)
	v_dual_fmamk_f32 v54, v18, 0x3ed4b147, v50 :: v_dual_add_f32 v23, v53, v23
	v_fma_f32 v26, 0xbf27a4f4, v4, -v52
	v_fmamk_f32 v53, v24, 0xbe11bafb, v51
	v_fma_f32 v50, 0x3ed4b147, v18, -v50
	v_fmamk_f32 v55, v4, 0xbf27a4f4, v52
	v_dual_add_f32 v23, v54, v23 :: v_dual_add_f32 v26, v119, v26
	s_delay_alu instid0(VALU_DEP_1) | instskip(SKIP_1) | instid1(VALU_DEP_4)
	v_dual_add_f32 v16, v50, v16 :: v_dual_add_f32 v23, v53, v23
	v_fmamk_f32 v53, v13, 0x3f575c64, v22
	v_add_f32_e32 v55, v119, v55
	v_mul_f32_e32 v27, 0x3f7d64f0, v12
	v_fma_f32 v22, 0x3f575c64, v13, -v22
	s_delay_alu instid0(VALU_DEP_2) | instskip(NEXT) | instid1(VALU_DEP_1)
	v_fmamk_f32 v54, v5, 0xbe11bafb, v27
	v_add_f32_e32 v52, v54, v55
	v_fma_f32 v27, 0xbe11bafb, v5, -v27
	v_mul_f32_e32 v54, 0xbe903f40, v19
	s_delay_alu instid0(VALU_DEP_2) | instskip(SKIP_2) | instid1(VALU_DEP_4)
	v_dual_mul_f32 v55, 0xbf0a6770, v19 :: v_dual_add_f32 v26, v27, v26
	v_fma_f32 v27, 0xbe11bafb, v24, -v51
	v_dual_mul_f32 v51, 0xbf7d64f0, v1 :: v_dual_add_f32 v50, v53, v52
	v_fmamk_f32 v52, v18, 0xbf75a155, v54
	s_delay_alu instid0(VALU_DEP_4) | instskip(SKIP_1) | instid1(VALU_DEP_4)
	v_dual_add_f32 v22, v22, v26 :: v_dual_mul_f32 v53, 0x3f68dda4, v25
	v_fma_f32 v26, 0xbf75a155, v18, -v54
	v_dual_add_f32 v16, v27, v16 :: v_dual_fmamk_f32 v27, v4, 0xbe11bafb, v51
	v_mul_f32_e32 v54, 0x3e903f40, v12
	v_add_f32_e32 v50, v52, v50
	s_delay_alu instid0(VALU_DEP_4)
	v_add_f32_e32 v22, v26, v22
	v_fma_f32 v26, 0xbe11bafb, v4, -v51
	v_add_f32_e32 v27, v119, v27
	v_fmamk_f32 v51, v5, 0xbf75a155, v54
	v_fmamk_f32 v52, v24, 0x3ed4b147, v53
	v_fma_f32 v53, 0x3ed4b147, v24, -v53
	v_add_f32_e32 v26, v119, v26
	s_delay_alu instid0(VALU_DEP_3) | instskip(SKIP_1) | instid1(VALU_DEP_4)
	v_dual_add_f32 v27, v51, v27 :: v_dual_add_f32 v50, v52, v50
	v_mul_f32_e32 v52, 0x3f68dda4, v17
	v_dual_add_f32 v22, v53, v22 :: v_dual_mul_f32 v53, 0xbf4178ce, v25
	v_mul_f32_e32 v17, 0xbf7d64f0, v17
	s_delay_alu instid0(VALU_DEP_3) | instskip(NEXT) | instid1(VALU_DEP_1)
	v_fmamk_f32 v51, v13, 0x3ed4b147, v52
	v_add_f32_e32 v27, v51, v27
	v_fmamk_f32 v51, v18, 0x3f575c64, v55
	v_fma_f32 v54, 0xbf75a155, v5, -v54
	s_delay_alu instid0(VALU_DEP_1) | instskip(SKIP_2) | instid1(VALU_DEP_2)
	v_dual_add_f32 v27, v51, v27 :: v_dual_add_f32 v26, v54, v26
	v_fma_f32 v52, 0x3ed4b147, v13, -v52
	v_mul_f32_e32 v54, 0xbf68dda4, v1
	v_dual_mul_f32 v1, 0xbf0a6770, v1 :: v_dual_add_f32 v26, v52, v26
	v_fma_f32 v52, 0x3f575c64, v18, -v55
	s_delay_alu instid0(VALU_DEP_3) | instskip(SKIP_1) | instid1(VALU_DEP_3)
	v_fmamk_f32 v55, v4, 0x3ed4b147, v54
	v_fmamk_f32 v51, v24, 0xbf27a4f4, v53
	v_add_f32_e32 v26, v52, v26
	v_fma_f32 v52, 0xbf27a4f4, v24, -v53
	v_fma_f32 v53, 0x3ed4b147, v4, -v54
	s_delay_alu instid0(VALU_DEP_2) | instskip(NEXT) | instid1(VALU_DEP_2)
	v_add_f32_e32 v26, v52, v26
	v_add_f32_e32 v52, v119, v53
	v_fma_f32 v53, 0xbf27a4f4, v5, -v72
	v_dual_add_f32 v54, v119, v55 :: v_dual_fmamk_f32 v55, v5, 0xbf27a4f4, v72
	v_mul_f32_e32 v72, 0x3f7d64f0, v19
	s_delay_alu instid0(VALU_DEP_3) | instskip(SKIP_1) | instid1(VALU_DEP_1)
	v_dual_mul_f32 v19, 0xbf4178ce, v19 :: v_dual_add_f32 v52, v53, v52
	v_fma_f32 v53, 0xbf75a155, v13, -v123
	v_add_f32_e32 v52, v53, v52
	s_delay_alu instid0(VALU_DEP_4) | instskip(NEXT) | instid1(VALU_DEP_1)
	v_fma_f32 v53, 0xbe11bafb, v18, -v72
	v_add_f32_e32 v52, v53, v52
	v_fma_f32 v53, 0x3f575c64, v4, -v1
	s_delay_alu instid0(VALU_DEP_1) | instskip(NEXT) | instid1(VALU_DEP_1)
	v_dual_fmamk_f32 v1, v4, 0x3f575c64, v1 :: v_dual_add_f32 v4, v119, v53
	v_add_f32_e32 v1, v119, v1
	v_dual_add_f32 v54, v55, v54 :: v_dual_fmamk_f32 v55, v13, 0xbf75a155, v123
	v_add_f32_e32 v123, v125, v37
	v_mul_f32_e32 v125, 0x3f0a6770, v25
	v_mul_f32_e32 v12, 0xbf68dda4, v12
	s_delay_alu instid0(VALU_DEP_4) | instskip(NEXT) | instid1(VALU_DEP_4)
	v_dual_add_f32 v54, v55, v54 :: v_dual_fmamk_f32 v55, v18, 0xbe11bafb, v72
	v_add_f32_e32 v72, v123, v35
	s_delay_alu instid0(VALU_DEP_4) | instskip(NEXT) | instid1(VALU_DEP_3)
	v_fma_f32 v123, 0x3f575c64, v24, -v125
	v_add_f32_e32 v54, v55, v54
	s_delay_alu instid0(VALU_DEP_3) | instskip(SKIP_1) | instid1(VALU_DEP_2)
	v_add_f32_e32 v72, v72, v33
	v_fmamk_f32 v55, v24, 0x3f575c64, v125
	v_add_f32_e32 v53, v72, v3
	v_fma_f32 v72, 0x3ed4b147, v5, -v12
	v_fmamk_f32 v5, v5, 0x3ed4b147, v12
	s_delay_alu instid0(VALU_DEP_3) | instskip(SKIP_1) | instid1(VALU_DEP_3)
	v_add_f32_e32 v12, v53, v32
	v_fma_f32 v53, 0xbe11bafb, v13, -v17
	v_add_f32_e32 v1, v5, v1
	s_delay_alu instid0(VALU_DEP_3) | instskip(SKIP_2) | instid1(VALU_DEP_3)
	v_dual_add_f32 v5, v12, v34 :: v_dual_fmamk_f32 v12, v13, 0xbe11bafb, v17
	v_fma_f32 v13, 0xbf27a4f4, v18, -v19
	v_mul_f32_e32 v17, 0xbe903f40, v25
	v_add_f32_e32 v5, v5, v36
	v_add_f32_e32 v4, v72, v4
	v_dual_add_f32 v1, v12, v1 :: v_dual_fmamk_f32 v12, v18, 0xbf27a4f4, v19
	v_mul_u32_u24_e32 v18, 0x134, v46
	s_delay_alu instid0(VALU_DEP_4) | instskip(NEXT) | instid1(VALU_DEP_4)
	v_add_f32_e32 v5, v5, v38
	v_dual_add_f32 v4, v53, v4 :: v_dual_add_f32 v19, v55, v54
	s_delay_alu instid0(VALU_DEP_4) | instskip(NEXT) | instid1(VALU_DEP_3)
	v_add_f32_e32 v1, v12, v1
	v_dual_fmamk_f32 v12, v24, 0xbf75a155, v17 :: v_dual_add_f32 v5, v5, v44
	s_delay_alu instid0(VALU_DEP_3) | instskip(SKIP_2) | instid1(VALU_DEP_2)
	v_add_f32_e32 v4, v13, v4
	v_fma_f32 v13, 0xbf75a155, v24, -v17
	v_add_f32_e32 v17, v123, v52
	v_dual_add_f32 v1, v12, v1 :: v_dual_add_f32 v4, v13, v4
	v_add3_u32 v13, 0, v18, v2
	v_add_f32_e32 v18, v51, v27
	ds_store_2addr_b32 v13, v5, v4 offset1:7
	ds_store_2addr_b32 v13, v17, v26 offset0:14 offset1:21
	ds_store_2addr_b32 v13, v22, v16 offset0:28 offset1:35
	;; [unrolled: 1-line block ×4, first 2 shown]
	ds_store_b32 v13, v1 offset:280
.LBB0_19:
	s_or_b32 exec_lo, exec_lo, s1
	v_dual_add_f32 v1, v0, v132 :: v_dual_sub_f32 v4, v6, v129
	v_dual_add_f32 v5, v132, v108 :: v_dual_add_f32 v6, v131, v109
	v_sub_f32_e32 v9, v9, v91
	s_delay_alu instid0(VALU_DEP_3)
	v_dual_add_f32 v1, v1, v131 :: v_dual_mul_f32 v12, 0xbf0a6770, v4
	v_mul_f32_e32 v13, 0xbf68dda4, v4
	v_sub_f32_e32 v7, v7, v124
	v_mul_f32_e32 v17, 0xbf4178ce, v4
	s_waitcnt lgkmcnt(0)
	s_barrier
	v_fmamk_f32 v24, v5, 0x3ed4b147, v13
	v_dual_add_f32 v1, v1, v112 :: v_dual_mul_f32 v22, 0x3e903f40, v7
	v_mul_f32_e32 v16, 0xbf7d64f0, v4
	s_delay_alu instid0(VALU_DEP_3) | instskip(NEXT) | instid1(VALU_DEP_3)
	v_dual_fmamk_f32 v23, v5, 0x3f575c64, v12 :: v_dual_add_f32 v24, v0, v24
	v_dual_add_f32 v1, v1, v110 :: v_dual_mul_f32 v4, 0xbe903f40, v4
	v_fma_f32 v12, 0x3f575c64, v5, -v12
	v_mul_f32_e32 v19, 0xbf4178ce, v7
	v_mul_f32_e32 v18, 0xbf68dda4, v7
	s_delay_alu instid0(VALU_DEP_4)
	v_add_f32_e32 v1, v1, v103
	v_fma_f32 v13, 0x3ed4b147, v5, -v13
	v_add_f32_e32 v12, v0, v12
	v_fmamk_f32 v50, v6, 0xbf27a4f4, v19
	v_fmamk_f32 v25, v5, 0xbe11bafb, v16
	v_add_f32_e32 v1, v1, v104
	v_fma_f32 v16, 0xbe11bafb, v5, -v16
	v_dual_fmamk_f32 v26, v5, 0xbf27a4f4, v17 :: v_dual_add_f32 v23, v0, v23
	v_fmamk_f32 v27, v5, 0xbf75a155, v4
	s_delay_alu instid0(VALU_DEP_4)
	v_add_f32_e32 v1, v1, v106
	v_fma_f32 v4, 0xbf75a155, v5, -v4
	v_add_f32_e32 v16, v0, v16
	v_add_f32_e32 v26, v0, v26
	v_fma_f32 v17, 0xbf27a4f4, v5, -v17
	v_add_f32_e32 v1, v1, v107
	v_add_f32_e32 v27, v0, v27
	buffer_gl0_inv
	v_dual_sub_f32 v10, v10, v100 :: v_dual_add_f32 v17, v0, v17
	v_add_f32_e32 v1, v1, v109
	v_fmamk_f32 v5, v6, 0x3ed4b147, v18
	v_fma_f32 v18, 0x3ed4b147, v6, -v18
	v_sub_f32_e32 v14, v14, v86
	v_add_nc_u32_e32 v52, 0x1600, v117
	v_dual_add_f32 v108, v1, v108 :: v_dual_add_f32 v13, v0, v13
	v_fma_f32 v1, 0xbf27a4f4, v6, -v19
	v_fma_f32 v19, 0xbf75a155, v6, -v22
	v_add_f32_e32 v25, v0, v25
	v_add_f32_e32 v0, v0, v4
	;; [unrolled: 1-line block ×4, first 2 shown]
	v_dual_mul_f32 v13, 0x3f7d64f0, v7 :: v_dual_add_f32 v16, v19, v16
	v_add_f32_e32 v5, v18, v12
	v_fmamk_f32 v12, v6, 0xbf75a155, v22
	v_add_f32_e32 v18, v50, v24
	s_delay_alu instid0(VALU_DEP_4) | instskip(SKIP_1) | instid1(VALU_DEP_4)
	v_fmamk_f32 v22, v6, 0xbe11bafb, v13
	v_dual_add_f32 v24, v112, v107 :: v_dual_sub_f32 v19, v49, v122
	v_dual_add_f32 v12, v12, v25 :: v_dual_mul_f32 v7, 0x3f0a6770, v7
	v_fma_f32 v13, 0xbe11bafb, v6, -v13
	s_delay_alu instid0(VALU_DEP_3) | instskip(SKIP_1) | instid1(VALU_DEP_4)
	v_dual_add_f32 v22, v22, v26 :: v_dual_mul_f32 v25, 0xbf7d64f0, v19
	v_add_nc_u32_e32 v49, 0xa00, v117
	v_fmamk_f32 v23, v6, 0x3f575c64, v7
	v_fma_f32 v6, 0x3f575c64, v6, -v7
	v_add_f32_e32 v7, v13, v17
	v_add_nc_u32_e32 v72, 0x1400, v117
	s_delay_alu instid0(VALU_DEP_3) | instskip(SKIP_1) | instid1(VALU_DEP_2)
	v_dual_add_f32 v0, v6, v0 :: v_dual_fmamk_f32 v17, v24, 0xbe11bafb, v25
	v_fma_f32 v6, 0xbe11bafb, v24, -v25
	v_dual_mul_f32 v25, 0x3f68dda4, v19 :: v_dual_add_f32 v4, v17, v4
	s_delay_alu instid0(VALU_DEP_1) | instskip(SKIP_1) | instid1(VALU_DEP_2)
	v_dual_add_f32 v5, v6, v5 :: v_dual_fmamk_f32 v6, v24, 0x3ed4b147, v25
	v_fma_f32 v25, 0x3ed4b147, v24, -v25
	v_add_f32_e32 v6, v6, v12
	s_delay_alu instid0(VALU_DEP_2) | instskip(SKIP_4) | instid1(VALU_DEP_4)
	v_add_f32_e32 v12, v25, v16
	v_sub_f32_e32 v16, v48, v111
	v_add_f32_e32 v13, v23, v27
	v_mul_f32_e32 v23, 0x3e903f40, v19
	v_dual_add_f32 v25, v110, v106 :: v_dual_add_nc_u32 v48, 0x400, v117
	v_mul_f32_e32 v26, 0xbf4178ce, v16
	s_delay_alu instid0(VALU_DEP_3) | instskip(SKIP_1) | instid1(VALU_DEP_2)
	v_fmamk_f32 v17, v24, 0xbf75a155, v23
	v_fma_f32 v23, 0xbf75a155, v24, -v23
	v_dual_add_f32 v17, v17, v18 :: v_dual_mul_f32 v18, 0xbf0a6770, v19
	s_delay_alu instid0(VALU_DEP_2) | instskip(SKIP_1) | instid1(VALU_DEP_3)
	v_add_f32_e32 v1, v23, v1
	v_mul_f32_e32 v19, 0xbf4178ce, v19
	v_fmamk_f32 v23, v24, 0x3f575c64, v18
	v_fma_f32 v18, 0x3f575c64, v24, -v18
	s_delay_alu instid0(VALU_DEP_2) | instskip(NEXT) | instid1(VALU_DEP_2)
	v_dual_fmamk_f32 v27, v24, 0xbf27a4f4, v19 :: v_dual_add_f32 v22, v23, v22
	v_add_f32_e32 v7, v18, v7
	v_fma_f32 v18, 0xbf27a4f4, v24, -v19
	v_fma_f32 v23, 0xbf27a4f4, v25, -v26
	v_mul_f32_e32 v24, 0x3f7d64f0, v16
	s_delay_alu instid0(VALU_DEP_2) | instskip(NEXT) | instid1(VALU_DEP_2)
	v_dual_add_f32 v0, v18, v0 :: v_dual_add_f32 v5, v23, v5
	v_fma_f32 v23, 0xbe11bafb, v25, -v24
	v_mul_f32_e32 v18, 0xbf0a6770, v16
	v_fmamk_f32 v19, v25, 0xbf27a4f4, v26
	s_delay_alu instid0(VALU_DEP_3) | instskip(NEXT) | instid1(VALU_DEP_2)
	v_add_f32_e32 v1, v23, v1
	v_dual_add_f32 v23, v76, v105 :: v_dual_add_f32 v4, v19, v4
	s_delay_alu instid0(VALU_DEP_1) | instskip(NEXT) | instid1(VALU_DEP_1)
	v_add_f32_e32 v23, v23, v80
	v_add_f32_e32 v23, v23, v99
	v_fmamk_f32 v19, v25, 0xbe11bafb, v24
	v_mul_f32_e32 v24, 0xbe903f40, v16
	v_fmamk_f32 v26, v25, 0x3f575c64, v18
	v_fma_f32 v18, 0x3f575c64, v25, -v18
	s_delay_alu instid0(VALU_DEP_4) | instskip(NEXT) | instid1(VALU_DEP_3)
	v_dual_mul_f32 v16, 0x3f68dda4, v16 :: v_dual_add_f32 v17, v19, v17
	v_dual_fmamk_f32 v19, v25, 0xbf75a155, v24 :: v_dual_add_f32 v6, v26, v6
	s_delay_alu instid0(VALU_DEP_3) | instskip(SKIP_1) | instid1(VALU_DEP_4)
	v_add_f32_e32 v12, v18, v12
	v_fma_f32 v18, 0xbf75a155, v25, -v24
	v_fmamk_f32 v24, v25, 0x3ed4b147, v16
	v_fma_f32 v16, 0x3ed4b147, v25, -v16
	s_delay_alu instid0(VALU_DEP_3) | instskip(SKIP_1) | instid1(VALU_DEP_3)
	v_dual_add_f32 v7, v18, v7 :: v_dual_add_f32 v18, v103, v104
	v_dual_add_f32 v19, v19, v22 :: v_dual_sub_f32 v22, v28, v29
	v_add_f32_e32 v0, v16, v0
	s_delay_alu instid0(VALU_DEP_2) | instskip(NEXT) | instid1(VALU_DEP_1)
	v_mul_f32_e32 v26, 0xbe903f40, v22
	v_fmamk_f32 v25, v18, 0xbf75a155, v26
	v_fma_f32 v26, 0xbf75a155, v18, -v26
	s_delay_alu instid0(VALU_DEP_2) | instskip(NEXT) | instid1(VALU_DEP_1)
	v_dual_add_f32 v104, v25, v4 :: v_dual_add_f32 v13, v27, v13
	v_dual_add_f32 v4, v23, v96 :: v_dual_add_f32 v13, v24, v13
	v_mul_f32_e32 v24, 0x3f0a6770, v22
	s_delay_alu instid0(VALU_DEP_2) | instskip(NEXT) | instid1(VALU_DEP_2)
	v_add_f32_e32 v4, v4, v87
	v_fmamk_f32 v16, v18, 0x3f575c64, v24
	s_delay_alu instid0(VALU_DEP_1) | instskip(SKIP_2) | instid1(VALU_DEP_2)
	v_add_f32_e32 v106, v16, v17
	v_fma_f32 v16, 0x3f575c64, v18, -v24
	v_mul_f32_e32 v17, 0x3f68dda4, v22
	v_add_f32_e32 v107, v16, v1
	s_delay_alu instid0(VALU_DEP_2) | instskip(NEXT) | instid1(VALU_DEP_1)
	v_dual_add_f32 v1, v4, v94 :: v_dual_fmamk_f32 v4, v18, 0x3ed4b147, v17
	v_dual_add_f32 v111, v4, v19 :: v_dual_sub_f32 v4, v11, v102
	s_delay_alu instid0(VALU_DEP_1) | instskip(SKIP_2) | instid1(VALU_DEP_1)
	v_dual_add_f32 v1, v1, v95 :: v_dual_mul_f32 v16, 0xbf0a6770, v4
	v_add_f32_e32 v103, v26, v5
	v_mul_f32_e32 v5, 0xbf4178ce, v22
	v_fmamk_f32 v23, v18, 0xbf27a4f4, v5
	s_delay_alu instid0(VALU_DEP_1) | instskip(SKIP_1) | instid1(VALU_DEP_1)
	v_add_f32_e32 v110, v23, v6
	v_fma_f32 v6, 0x3ed4b147, v18, -v17
	v_dual_mul_f32 v23, 0x3e903f40, v10 :: v_dual_add_f32 v102, v6, v7
	v_fma_f32 v5, 0xbf27a4f4, v18, -v5
	s_delay_alu instid0(VALU_DEP_1) | instskip(SKIP_1) | instid1(VALU_DEP_1)
	v_add_f32_e32 v109, v5, v12
	v_dual_mul_f32 v5, 0xbf7d64f0, v22 :: v_dual_add_f32 v12, v105, v101
	v_fmamk_f32 v11, v18, 0xbe11bafb, v5
	v_fma_f32 v5, 0xbe11bafb, v18, -v5
	s_delay_alu instid0(VALU_DEP_3)
	v_fmamk_f32 v6, v12, 0x3f575c64, v16
	v_add_f32_e32 v18, v80, v98
	v_lshl_add_u32 v80, v118, 2, 0
	v_add_f32_e32 v105, v11, v13
	v_mul_f32_e32 v11, 0xbf4178ce, v4
	v_add_f32_e32 v112, v5, v0
	v_fma_f32 v5, 0x3f575c64, v12, -v16
	v_mul_f32_e32 v0, 0xbf68dda4, v4
	s_delay_alu instid0(VALU_DEP_4) | instskip(SKIP_1) | instid1(VALU_DEP_3)
	v_dual_fmamk_f32 v16, v12, 0xbf27a4f4, v11 :: v_dual_add_f32 v1, v1, v97
	v_fma_f32 v11, 0xbf27a4f4, v12, -v11
	v_fmamk_f32 v7, v12, 0x3ed4b147, v0
	v_fma_f32 v0, 0x3ed4b147, v12, -v0
	s_delay_alu instid0(VALU_DEP_4) | instskip(SKIP_1) | instid1(VALU_DEP_2)
	v_dual_add_f32 v16, v76, v16 :: v_dual_add_f32 v1, v1, v98
	v_add_f32_e32 v5, v76, v5
	v_dual_add_f32 v0, v76, v0 :: v_dual_add_f32 v101, v1, v101
	v_dual_add_f32 v1, v76, v6 :: v_dual_mul_f32 v6, 0xbf7d64f0, v4
	v_mul_f32_e32 v4, 0xbe903f40, v4
	s_delay_alu instid0(VALU_DEP_2) | instskip(NEXT) | instid1(VALU_DEP_2)
	v_fmamk_f32 v13, v12, 0xbe11bafb, v6
	v_fmamk_f32 v17, v12, 0xbf75a155, v4
	v_fma_f32 v4, 0xbf75a155, v12, -v4
	v_fma_f32 v6, 0xbe11bafb, v12, -v6
	s_delay_alu instid0(VALU_DEP_4) | instskip(NEXT) | instid1(VALU_DEP_4)
	v_add_f32_e32 v13, v76, v13
	v_dual_add_f32 v12, v76, v17 :: v_dual_mul_f32 v17, 0xbf4178ce, v10
	s_delay_alu instid0(VALU_DEP_4) | instskip(NEXT) | instid1(VALU_DEP_4)
	v_dual_add_f32 v4, v76, v4 :: v_dual_mul_f32 v19, 0xbf68dda4, v10
	v_add_f32_e32 v6, v76, v6
	s_delay_alu instid0(VALU_DEP_3) | instskip(SKIP_1) | instid1(VALU_DEP_4)
	v_fmamk_f32 v24, v18, 0xbf27a4f4, v17
	v_fma_f32 v17, 0xbf27a4f4, v18, -v17
	v_fmamk_f32 v22, v18, 0x3ed4b147, v19
	s_delay_alu instid0(VALU_DEP_1) | instskip(SKIP_3) | instid1(VALU_DEP_3)
	v_dual_add_f32 v0, v17, v0 :: v_dual_add_f32 v1, v22, v1
	v_fma_f32 v22, 0xbf75a155, v18, -v23
	v_mul_f32_e32 v17, 0x3f7d64f0, v10
	v_dual_mul_f32 v10, 0x3f0a6770, v10 :: v_dual_add_f32 v7, v76, v7
	v_add_f32_e32 v6, v22, v6
	s_delay_alu instid0(VALU_DEP_2) | instskip(SKIP_1) | instid1(VALU_DEP_2)
	v_fmamk_f32 v22, v18, 0x3f575c64, v10
	v_fma_f32 v10, 0x3f575c64, v18, -v10
	v_add_f32_e32 v12, v22, v12
	s_delay_alu instid0(VALU_DEP_2) | instskip(SKIP_1) | instid1(VALU_DEP_1)
	v_add_f32_e32 v4, v10, v4
	v_fma_f32 v19, 0x3ed4b147, v18, -v19
	v_add_f32_e32 v5, v19, v5
	v_fmamk_f32 v19, v18, 0xbf75a155, v23
	v_add_f32_e32 v23, v99, v97
	s_delay_alu instid0(VALU_DEP_2)
	v_add_f32_e32 v13, v19, v13
	v_sub_f32_e32 v19, v21, v81
	v_add_f32_e32 v7, v24, v7
	v_fmamk_f32 v21, v18, 0xbe11bafb, v17
	v_fma_f32 v17, 0xbe11bafb, v18, -v17
	v_lshl_add_u32 v81, v113, 2, 0
	v_mul_f32_e32 v24, 0xbf7d64f0, v19
	v_mul_f32_e32 v18, 0x3e903f40, v19
	v_dual_add_f32 v16, v21, v16 :: v_dual_mul_f32 v21, 0x3f68dda4, v19
	v_add_f32_e32 v11, v76, v11
	s_delay_alu instid0(VALU_DEP_4) | instskip(SKIP_1) | instid1(VALU_DEP_2)
	v_fma_f32 v10, 0xbe11bafb, v23, -v24
	v_add_nc_u32_e32 v76, 0x400, v81
	v_dual_add_f32 v5, v10, v5 :: v_dual_fmamk_f32 v10, v23, 0x3ed4b147, v21
	v_fma_f32 v21, 0x3ed4b147, v23, -v21
	s_delay_alu instid0(VALU_DEP_2) | instskip(SKIP_2) | instid1(VALU_DEP_4)
	v_dual_add_f32 v10, v10, v13 :: v_dual_sub_f32 v13, v20, v82
	v_add_f32_e32 v20, v96, v95
	v_add_f32_e32 v11, v17, v11
	v_dual_fmamk_f32 v17, v23, 0xbe11bafb, v24 :: v_dual_add_f32 v6, v21, v6
	s_delay_alu instid0(VALU_DEP_4) | instskip(NEXT) | instid1(VALU_DEP_2)
	v_mul_f32_e32 v21, 0xbf4178ce, v13
	v_add_f32_e32 v1, v17, v1
	v_fmamk_f32 v17, v23, 0xbf75a155, v18
	v_fma_f32 v18, 0xbf75a155, v23, -v18
	s_delay_alu instid0(VALU_DEP_1) | instskip(SKIP_1) | instid1(VALU_DEP_1)
	v_dual_add_f32 v7, v17, v7 :: v_dual_add_f32 v0, v18, v0
	v_mul_f32_e32 v18, 0xbf4178ce, v19
	v_fmamk_f32 v22, v23, 0xbf27a4f4, v18
	s_delay_alu instid0(VALU_DEP_1) | instskip(NEXT) | instid1(VALU_DEP_1)
	v_dual_mul_f32 v17, 0xbf0a6770, v19 :: v_dual_add_f32 v12, v22, v12
	v_fmamk_f32 v19, v23, 0x3f575c64, v17
	v_fma_f32 v17, 0x3f575c64, v23, -v17
	s_delay_alu instid0(VALU_DEP_1) | instskip(SKIP_3) | instid1(VALU_DEP_3)
	v_dual_add_f32 v16, v19, v16 :: v_dual_add_f32 v11, v17, v11
	v_fma_f32 v17, 0xbf27a4f4, v23, -v18
	v_fmamk_f32 v18, v20, 0xbf27a4f4, v21
	v_fma_f32 v19, 0xbf27a4f4, v20, -v21
	v_dual_mul_f32 v21, 0x3f7d64f0, v13 :: v_dual_add_f32 v4, v17, v4
	v_mul_f32_e32 v17, 0xbf0a6770, v13
	s_delay_alu instid0(VALU_DEP_1) | instskip(SKIP_1) | instid1(VALU_DEP_4)
	v_fmamk_f32 v22, v20, 0x3f575c64, v17
	v_fma_f32 v17, 0x3f575c64, v20, -v17
	v_dual_add_f32 v1, v18, v1 :: v_dual_fmamk_f32 v18, v20, 0xbe11bafb, v21
	s_delay_alu instid0(VALU_DEP_3) | instskip(NEXT) | instid1(VALU_DEP_3)
	v_add_f32_e32 v10, v22, v10
	v_dual_add_f32 v6, v17, v6 :: v_dual_add_f32 v5, v19, v5
	v_fma_f32 v19, 0xbe11bafb, v20, -v21
	v_mul_f32_e32 v21, 0xbe903f40, v13
	s_delay_alu instid0(VALU_DEP_2) | instskip(NEXT) | instid1(VALU_DEP_2)
	v_dual_add_f32 v7, v18, v7 :: v_dual_add_f32 v0, v19, v0
	v_fmamk_f32 v18, v20, 0xbf75a155, v21
	v_fma_f32 v17, 0xbf75a155, v20, -v21
	s_delay_alu instid0(VALU_DEP_2) | instskip(SKIP_1) | instid1(VALU_DEP_1)
	v_dual_add_f32 v19, v75, v78 :: v_dual_add_f32 v16, v18, v16
	v_sub_f32_e32 v18, v31, v30
	v_dual_add_f32 v19, v19, v79 :: v_dual_mul_f32 v22, 0xbe903f40, v18
	s_delay_alu instid0(VALU_DEP_4) | instskip(SKIP_2) | instid1(VALU_DEP_4)
	v_add_f32_e32 v11, v17, v11
	v_mul_f32_e32 v13, 0x3f68dda4, v13
	v_add_f32_e32 v17, v87, v94
	v_add_f32_e32 v19, v19, v83
	s_delay_alu instid0(VALU_DEP_3) | instskip(SKIP_2) | instid1(VALU_DEP_3)
	v_fmamk_f32 v21, v20, 0x3ed4b147, v13
	v_fma_f32 v13, 0x3ed4b147, v20, -v13
	v_mul_f32_e32 v20, 0x3f0a6770, v18
	v_add_f32_e32 v12, v21, v12
	v_fmamk_f32 v21, v17, 0xbf75a155, v22
	s_delay_alu instid0(VALU_DEP_4) | instskip(NEXT) | instid1(VALU_DEP_4)
	v_add_f32_e32 v4, v13, v4
	v_fmamk_f32 v13, v17, 0x3f575c64, v20
	v_fma_f32 v22, 0xbf75a155, v17, -v22
	s_delay_alu instid0(VALU_DEP_4) | instskip(NEXT) | instid1(VALU_DEP_3)
	v_add_f32_e32 v82, v21, v1
	v_dual_add_f32 v1, v19, v77 :: v_dual_add_f32 v94, v13, v7
	v_fma_f32 v7, 0x3f575c64, v17, -v20
	v_mul_f32_e32 v13, 0x3f68dda4, v18
	s_delay_alu instid0(VALU_DEP_3) | instskip(NEXT) | instid1(VALU_DEP_1)
	v_add_f32_e32 v1, v1, v66
	v_dual_add_f32 v95, v7, v0 :: v_dual_add_f32 v0, v1, v67
	s_delay_alu instid0(VALU_DEP_1) | instskip(NEXT) | instid1(VALU_DEP_1)
	v_dual_fmamk_f32 v1, v17, 0x3ed4b147, v13 :: v_dual_add_f32 v0, v0, v69
	v_dual_add_f32 v98, v1, v16 :: v_dual_add_f32 v87, v22, v5
	v_sub_f32_e32 v1, v8, v93
	v_mul_f32_e32 v5, 0xbf4178ce, v18
	v_add_f32_e32 v16, v79, v90
	v_add_f32_e32 v0, v0, v89
	s_delay_alu instid0(VALU_DEP_3) | instskip(NEXT) | instid1(VALU_DEP_2)
	v_dual_add_f32 v8, v78, v92 :: v_dual_fmamk_f32 v19, v17, 0xbf27a4f4, v5
	v_add_f32_e32 v0, v0, v90
	s_delay_alu instid0(VALU_DEP_2) | instskip(SKIP_2) | instid1(VALU_DEP_4)
	v_add_f32_e32 v96, v19, v10
	v_mul_f32_e32 v10, 0xbf0a6770, v1
	v_fma_f32 v5, 0xbf27a4f4, v17, -v5
	v_dual_add_f32 v92, v0, v92 :: v_dual_mul_f32 v19, 0x3e903f40, v9
	s_delay_alu instid0(VALU_DEP_2) | instskip(SKIP_1) | instid1(VALU_DEP_1)
	v_add_f32_e32 v97, v5, v6
	v_fma_f32 v6, 0x3ed4b147, v17, -v13
	v_dual_mul_f32 v5, 0xbf7d64f0, v18 :: v_dual_add_f32 v78, v6, v11
	v_fmamk_f32 v6, v8, 0x3f575c64, v10
	s_delay_alu instid0(VALU_DEP_1) | instskip(SKIP_1) | instid1(VALU_DEP_1)
	v_add_f32_e32 v0, v75, v6
	v_mul_f32_e32 v6, 0xbf7d64f0, v1
	v_fmamk_f32 v11, v8, 0xbe11bafb, v6
	v_fma_f32 v6, 0xbe11bafb, v8, -v6
	s_delay_alu instid0(VALU_DEP_1) | instskip(SKIP_2) | instid1(VALU_DEP_1)
	v_dual_add_f32 v6, v75, v6 :: v_dual_fmamk_f32 v7, v17, 0xbe11bafb, v5
	v_fma_f32 v5, 0xbe11bafb, v17, -v5
	v_mul_f32_e32 v17, 0xbf68dda4, v9
	v_dual_add_f32 v99, v5, v4 :: v_dual_fmamk_f32 v18, v16, 0x3ed4b147, v17
	v_mul_f32_e32 v4, 0xbf68dda4, v1
	v_fma_f32 v5, 0x3f575c64, v8, -v10
	v_mul_f32_e32 v10, 0xbf4178ce, v1
	s_delay_alu instid0(VALU_DEP_4) | instskip(SKIP_2) | instid1(VALU_DEP_2)
	v_dual_mul_f32 v1, 0xbe903f40, v1 :: v_dual_add_f32 v0, v18, v0
	v_fma_f32 v18, 0xbf75a155, v16, -v19
	v_fma_f32 v17, 0x3ed4b147, v16, -v17
	v_dual_add_f32 v6, v18, v6 :: v_dual_add_f32 v93, v7, v12
	v_fmamk_f32 v12, v8, 0xbf27a4f4, v10
	v_fma_f32 v10, 0xbf27a4f4, v8, -v10
	v_fmamk_f32 v13, v8, 0xbf75a155, v1
	v_fmamk_f32 v7, v8, 0x3ed4b147, v4
	v_fma_f32 v4, 0x3ed4b147, v8, -v4
	v_fma_f32 v1, 0xbf75a155, v8, -v1
	v_add_f32_e32 v8, v75, v10
	v_add_f32_e32 v10, v75, v13
	s_delay_alu instid0(VALU_DEP_4) | instskip(SKIP_3) | instid1(VALU_DEP_4)
	v_dual_mul_f32 v13, 0xbf4178ce, v9 :: v_dual_add_f32 v4, v75, v4
	v_add_f32_e32 v11, v75, v11
	v_add_f32_e32 v7, v75, v7
	;; [unrolled: 1-line block ×3, first 2 shown]
	v_fmamk_f32 v20, v16, 0xbf27a4f4, v13
	v_fma_f32 v13, 0xbf27a4f4, v16, -v13
	s_delay_alu instid0(VALU_DEP_1) | instskip(SKIP_4) | instid1(VALU_DEP_2)
	v_dual_add_f32 v1, v75, v1 :: v_dual_add_f32 v4, v13, v4
	v_mul_f32_e32 v13, 0x3f7d64f0, v9
	v_mul_f32_e32 v9, 0x3f0a6770, v9
	v_add_f32_e32 v5, v75, v5
	v_add_nc_u32_e32 v75, 0x1000, v117
	v_dual_fmamk_f32 v18, v16, 0x3f575c64, v9 :: v_dual_add_f32 v5, v17, v5
	v_fmamk_f32 v17, v16, 0xbf75a155, v19
	v_add_f32_e32 v19, v83, v89
	v_fma_f32 v9, 0x3f575c64, v16, -v9
	s_delay_alu instid0(VALU_DEP_3) | instskip(SKIP_3) | instid1(VALU_DEP_3)
	v_dual_add_f32 v10, v18, v10 :: v_dual_add_f32 v11, v17, v11
	v_fmamk_f32 v17, v16, 0xbe11bafb, v13
	v_fma_f32 v13, 0xbe11bafb, v16, -v13
	v_mul_f32_e32 v16, 0x3e903f40, v14
	v_add_f32_e32 v12, v17, v12
	s_delay_alu instid0(VALU_DEP_3) | instskip(SKIP_2) | instid1(VALU_DEP_2)
	v_dual_add_f32 v8, v13, v8 :: v_dual_add_f32 v7, v20, v7
	v_mul_f32_e32 v20, 0xbf7d64f0, v14
	v_mul_f32_e32 v17, 0x3f68dda4, v14
	v_fmamk_f32 v13, v19, 0xbe11bafb, v20
	s_delay_alu instid0(VALU_DEP_1) | instskip(SKIP_1) | instid1(VALU_DEP_2)
	v_dual_add_f32 v0, v13, v0 :: v_dual_fmamk_f32 v13, v19, 0xbf75a155, v16
	v_fma_f32 v16, 0xbf75a155, v19, -v16
	v_add_f32_e32 v7, v13, v7
	v_mul_f32_e32 v13, 0xbf0a6770, v14
	v_mul_f32_e32 v14, 0xbf4178ce, v14
	s_delay_alu instid0(VALU_DEP_4)
	v_add_f32_e32 v4, v16, v4
	v_add_f32_e32 v16, v77, v69
	;; [unrolled: 1-line block ×3, first 2 shown]
	v_fma_f32 v9, 0xbe11bafb, v19, -v20
	v_fmamk_f32 v18, v19, 0xbf27a4f4, v14
	v_add_nc_u32_e32 v69, 0x800, v117
	s_delay_alu instid0(VALU_DEP_2) | instskip(NEXT) | instid1(VALU_DEP_4)
	v_dual_add_f32 v10, v18, v10 :: v_dual_add_nc_u32 v77, 0x1c00, v117
	v_add_f32_e32 v5, v9, v5
	v_fmamk_f32 v9, v19, 0x3ed4b147, v17
	v_fma_f32 v17, 0x3ed4b147, v19, -v17
	s_delay_alu instid0(VALU_DEP_2)
	v_add_f32_e32 v9, v9, v11
	v_sub_f32_e32 v11, v15, v68
	v_fmamk_f32 v15, v19, 0x3f575c64, v13
	v_fma_f32 v13, 0x3f575c64, v19, -v13
	v_add_f32_e32 v6, v17, v6
	v_add_nc_u32_e32 v68, 0x1200, v117
	s_delay_alu instid0(VALU_DEP_4) | instskip(NEXT) | instid1(VALU_DEP_4)
	v_add_f32_e32 v12, v15, v12
	v_add_f32_e32 v8, v13, v8
	v_fma_f32 v13, 0xbf27a4f4, v19, -v14
	v_mul_f32_e32 v15, 0x3f7d64f0, v11
	s_delay_alu instid0(VALU_DEP_2) | instskip(SKIP_1) | instid1(VALU_DEP_1)
	v_add_f32_e32 v1, v13, v1
	v_mul_f32_e32 v13, 0xbf0a6770, v11
	v_fmamk_f32 v18, v16, 0x3f575c64, v13
	v_fma_f32 v13, 0x3f575c64, v16, -v13
	s_delay_alu instid0(VALU_DEP_1) | instskip(SKIP_3) | instid1(VALU_DEP_3)
	v_dual_add_f32 v9, v18, v9 :: v_dual_add_f32 v6, v13, v6
	v_mul_f32_e32 v17, 0xbf4178ce, v11
	v_sub_f32_e32 v13, v73, v65
	v_add_nc_u32_e32 v65, 0xc00, v117
	v_fmamk_f32 v14, v16, 0xbf27a4f4, v17
	v_fma_f32 v17, 0xbf27a4f4, v16, -v17
	s_delay_alu instid0(VALU_DEP_4) | instskip(NEXT) | instid1(VALU_DEP_3)
	v_mul_f32_e32 v18, 0xbe903f40, v13
	v_add_f32_e32 v0, v14, v0
	s_delay_alu instid0(VALU_DEP_3) | instskip(SKIP_3) | instid1(VALU_DEP_3)
	v_dual_fmamk_f32 v14, v16, 0xbe11bafb, v15 :: v_dual_add_f32 v5, v17, v5
	v_mul_f32_e32 v17, 0xbe903f40, v11
	v_fma_f32 v15, 0xbe11bafb, v16, -v15
	v_mul_f32_e32 v11, 0x3f68dda4, v11
	v_dual_add_f32 v7, v14, v7 :: v_dual_fmamk_f32 v14, v16, 0xbf75a155, v17
	s_delay_alu instid0(VALU_DEP_2) | instskip(SKIP_1) | instid1(VALU_DEP_3)
	v_dual_add_f32 v4, v15, v4 :: v_dual_fmamk_f32 v15, v16, 0x3ed4b147, v11
	v_fma_f32 v11, 0x3ed4b147, v16, -v11
	v_add_f32_e32 v12, v14, v12
	v_fma_f32 v14, 0xbf75a155, v16, -v17
	s_delay_alu instid0(VALU_DEP_4) | instskip(NEXT) | instid1(VALU_DEP_4)
	v_dual_add_f32 v17, v66, v67 :: v_dual_add_f32 v10, v15, v10
	v_add_f32_e32 v1, v11, v1
	v_mul_f32_e32 v16, 0xbf4178ce, v13
	s_delay_alu instid0(VALU_DEP_4)
	v_add_f32_e32 v8, v14, v8
	v_mul_f32_e32 v14, 0x3f0a6770, v13
	v_fmamk_f32 v15, v17, 0xbf75a155, v18
	v_fma_f32 v11, 0xbf75a155, v17, -v18
	v_add_nc_u32_e32 v66, 0x1800, v117
	v_add_nc_u32_e32 v67, 0x600, v117
	s_delay_alu instid0(VALU_DEP_4) | instskip(SKIP_2) | instid1(VALU_DEP_2)
	v_dual_fmamk_f32 v18, v17, 0x3f575c64, v14 :: v_dual_add_f32 v73, v15, v0
	v_fma_f32 v0, 0x3f575c64, v17, -v14
	v_add_f32_e32 v79, v11, v5
	v_dual_fmamk_f32 v5, v17, 0xbf27a4f4, v16 :: v_dual_add_f32 v86, v0, v4
	s_delay_alu instid0(VALU_DEP_4) | instskip(SKIP_1) | instid1(VALU_DEP_3)
	v_dual_mul_f32 v0, 0xbf7d64f0, v13 :: v_dual_add_f32 v83, v18, v7
	v_mul_f32_e32 v7, 0x3f68dda4, v13
	v_add_f32_e32 v89, v5, v9
	v_fma_f32 v4, 0xbf27a4f4, v17, -v16
	s_delay_alu instid0(VALU_DEP_4) | instskip(SKIP_4) | instid1(VALU_DEP_4)
	v_fmamk_f32 v9, v17, 0xbe11bafb, v0
	v_fma_f32 v0, 0xbe11bafb, v17, -v0
	v_fmamk_f32 v5, v17, 0x3ed4b147, v7
	v_fma_f32 v7, 0x3ed4b147, v17, -v7
	v_add_f32_e32 v90, v4, v6
	v_dual_add_f32 v119, v9, v10 :: v_dual_add_f32 v122, v0, v1
	s_delay_alu instid0(VALU_DEP_4) | instskip(NEXT) | instid1(VALU_DEP_4)
	v_add_f32_e32 v91, v5, v12
	v_add_f32_e32 v100, v7, v8
	ds_load_b32 v51, v117
	ds_load_2addr_b32 v[30:31], v48 offset0:129 offset1:184
	ds_load_2addr_b32 v[4:5], v49 offset0:75 offset1:130
	;; [unrolled: 1-line block ×8, first 2 shown]
	ds_load_b32 v54, v85
	ds_load_b32 v50, v88
	ds_load_2addr_b32 v[16:17], v65 offset0:167 offset1:222
	ds_load_2addr_b32 v[18:19], v66 offset0:169 offset1:224
	ds_load_b32 v55, v84
	ds_load_b32 v53, v80
	ds_load_2addr_b32 v[14:15], v69 offset0:93 offset1:148
	ds_load_2addr_b32 v[12:13], v72 offset0:95 offset1:150
	;; [unrolled: 1-line block ×5, first 2 shown]
	s_waitcnt lgkmcnt(0)
	s_barrier
	buffer_gl0_inv
	ds_store_2addr_b32 v47, v108, v104 offset1:7
	ds_store_2addr_b32 v47, v106, v110 offset0:14 offset1:21
	ds_store_2addr_b32 v47, v111, v105 offset0:28 offset1:35
	ds_store_2addr_b32 v47, v112, v102 offset0:42 offset1:49
	ds_store_2addr_b32 v47, v109, v107 offset0:56 offset1:63
	ds_store_b32 v47, v103 offset:280
	ds_store_2addr_b32 v120, v101, v82 offset1:7
	ds_store_2addr_b32 v120, v94, v96 offset0:14 offset1:21
	ds_store_2addr_b32 v120, v98, v93 offset0:28 offset1:35
	ds_store_2addr_b32 v120, v99, v78 offset0:42 offset1:49
	ds_store_2addr_b32 v120, v97, v95 offset0:56 offset1:63
	ds_store_b32 v120, v87 offset:280
	ds_store_2addr_b32 v121, v92, v73 offset1:7
	ds_store_2addr_b32 v121, v83, v89 offset0:14 offset1:21
	ds_store_2addr_b32 v121, v91, v119 offset0:28 offset1:35
	ds_store_2addr_b32 v121, v122, v100 offset0:42 offset1:49
	ds_store_2addr_b32 v121, v90, v86 offset0:56 offset1:63
	ds_store_b32 v121, v79 offset:280
	s_and_saveexec_b32 s1, s0
	s_cbranch_execz .LBB0_21
; %bb.20:
	v_add_f32_e32 v47, v71, v64
	v_dual_sub_f32 v39, v39, v44 :: v_dual_add_f32 v44, v64, v61
	v_dual_add_f32 v64, v63, v45 :: v_dual_sub_f32 v37, v37, v38
	s_delay_alu instid0(VALU_DEP_3) | instskip(SKIP_3) | instid1(VALU_DEP_4)
	v_add_f32_e32 v38, v47, v63
	v_sub_f32_e32 v3, v3, v32
	v_mul_u32_u24_e32 v46, 0x134, v46
	v_sub_f32_e32 v33, v33, v34
	v_dual_mul_f32 v79, 0xbf68dda4, v37 :: v_dual_add_f32 v38, v38, v62
	v_mul_f32_e32 v47, 0xbf0a6770, v39
	s_delay_alu instid0(VALU_DEP_4) | instskip(NEXT) | instid1(VALU_DEP_3)
	v_add3_u32 v2, 0, v46, v2
	v_dual_add_f32 v38, v38, v58 :: v_dual_mul_f32 v63, 0xbf68dda4, v39
	v_add_f32_e32 v58, v58, v59
	s_delay_alu instid0(VALU_DEP_2) | instskip(SKIP_1) | instid1(VALU_DEP_2)
	v_dual_add_f32 v38, v38, v56 :: v_dual_mul_f32 v73, 0xbf7d64f0, v39
	v_add_f32_e32 v56, v56, v57
	v_add_f32_e32 v38, v38, v57
	v_mul_f32_e32 v83, 0x3e903f40, v37
	s_delay_alu instid0(VALU_DEP_4) | instskip(SKIP_4) | instid1(VALU_DEP_4)
	v_fmamk_f32 v89, v44, 0xbe11bafb, v73
	v_mul_f32_e32 v78, 0xbf4178ce, v39
	v_fma_f32 v73, 0xbe11bafb, v44, -v73
	v_dual_add_f32 v38, v38, v59 :: v_dual_fmamk_f32 v87, v44, 0x3ed4b147, v63
	v_fma_f32 v63, 0x3ed4b147, v44, -v63
	v_dual_add_f32 v89, v71, v89 :: v_dual_fmamk_f32 v90, v44, 0xbf27a4f4, v78
	s_delay_alu instid0(VALU_DEP_3) | instskip(NEXT) | instid1(VALU_DEP_4)
	v_add_f32_e32 v38, v38, v60
	v_dual_fmamk_f32 v86, v44, 0x3f575c64, v47 :: v_dual_add_f32 v87, v71, v87
	v_mul_f32_e32 v39, 0xbe903f40, v39
	v_fma_f32 v47, 0x3f575c64, v44, -v47
	v_mul_f32_e32 v82, 0xbf4178ce, v37
	s_delay_alu instid0(VALU_DEP_4) | instskip(NEXT) | instid1(VALU_DEP_4)
	v_add_f32_e32 v86, v71, v86
	v_dual_add_f32 v38, v38, v45 :: v_dual_fmamk_f32 v91, v44, 0xbf75a155, v39
	v_fma_f32 v78, 0xbf27a4f4, v44, -v78
	v_fma_f32 v39, 0xbf75a155, v44, -v39
	v_dual_fmamk_f32 v44, v64, 0x3ed4b147, v79 :: v_dual_add_f32 v73, v71, v73
	v_fma_f32 v79, 0x3ed4b147, v64, -v79
	v_add_f32_e32 v47, v71, v47
	v_dual_add_f32 v63, v71, v63 :: v_dual_add_f32 v38, v38, v61
	v_fma_f32 v61, 0xbf27a4f4, v64, -v82
	v_dual_fmamk_f32 v92, v64, 0xbf27a4f4, v82 :: v_dual_add_f32 v45, v71, v78
	v_add_f32_e32 v90, v71, v90
	v_add_f32_e32 v78, v71, v91
	s_delay_alu instid0(VALU_DEP_4)
	v_add_f32_e32 v61, v61, v63
	v_mul_f32_e32 v63, 0x3f7d64f0, v37
	v_dual_add_f32 v39, v71, v39 :: v_dual_add_f32 v44, v44, v86
	v_add_f32_e32 v47, v79, v47
	v_fmamk_f32 v71, v64, 0xbf75a155, v83
	v_dual_add_f32 v79, v92, v87 :: v_dual_add_f32 v60, v62, v60
	v_fma_f32 v82, 0xbf75a155, v64, -v83
	v_mul_f32_e32 v37, 0x3f0a6770, v37
	v_dual_sub_f32 v35, v35, v36 :: v_dual_fmamk_f32 v36, v64, 0xbe11bafb, v63
	v_add_f32_e32 v71, v71, v89
	s_delay_alu instid0(VALU_DEP_3) | instskip(NEXT) | instid1(VALU_DEP_3)
	v_dual_add_f32 v73, v82, v73 :: v_dual_fmamk_f32 v82, v64, 0x3f575c64, v37
	v_mul_f32_e32 v62, 0xbf7d64f0, v35
	s_delay_alu instid0(VALU_DEP_4) | instskip(SKIP_4) | instid1(VALU_DEP_4)
	v_add_f32_e32 v36, v36, v90
	v_fma_f32 v63, 0xbe11bafb, v64, -v63
	v_fma_f32 v37, 0x3f575c64, v64, -v37
	v_mul_f32_e32 v59, 0xbf4178ce, v33
	v_fmamk_f32 v64, v60, 0xbe11bafb, v62
	v_dual_mul_f32 v34, 0xbf4178ce, v35 :: v_dual_add_f32 v45, v63, v45
	v_dual_add_f32 v63, v82, v78 :: v_dual_mul_f32 v78, 0x3e903f40, v35
	v_add_f32_e32 v37, v37, v39
	v_fma_f32 v39, 0xbe11bafb, v60, -v62
	v_mul_f32_e32 v62, 0x3f68dda4, v35
	v_add_f32_e32 v44, v64, v44
	v_fmamk_f32 v64, v60, 0xbf75a155, v78
	v_fma_f32 v78, 0xbf75a155, v60, -v78
	v_add_f32_e32 v39, v39, v47
	v_fmamk_f32 v47, v60, 0x3ed4b147, v62
	v_fma_f32 v62, 0x3ed4b147, v60, -v62
	s_delay_alu instid0(VALU_DEP_4) | instskip(SKIP_1) | instid1(VALU_DEP_3)
	v_dual_add_f32 v64, v64, v79 :: v_dual_add_f32 v61, v78, v61
	v_mul_f32_e32 v78, 0xbf0a6770, v35
	v_dual_mul_f32 v57, 0xbe903f40, v3 :: v_dual_add_f32 v62, v62, v73
	v_fmamk_f32 v73, v60, 0xbf27a4f4, v34
	v_fma_f32 v34, 0xbf27a4f4, v60, -v34
	v_add_f32_e32 v47, v47, v71
	v_fma_f32 v71, 0x3f575c64, v60, -v78
	s_delay_alu instid0(VALU_DEP_4) | instskip(SKIP_1) | instid1(VALU_DEP_2)
	v_dual_fmamk_f32 v35, v60, 0x3f575c64, v78 :: v_dual_add_f32 v60, v73, v63
	v_mul_f32_e32 v63, 0x3f7d64f0, v33
	v_dual_add_f32 v34, v34, v37 :: v_dual_add_f32 v35, v35, v36
	s_delay_alu instid0(VALU_DEP_4) | instskip(SKIP_1) | instid1(VALU_DEP_2)
	v_dual_add_f32 v36, v71, v45 :: v_dual_fmamk_f32 v45, v58, 0xbf27a4f4, v59
	v_fma_f32 v59, 0xbf27a4f4, v58, -v59
	v_dual_add_f32 v37, v45, v44 :: v_dual_mul_f32 v44, 0xbf0a6770, v33
	v_fmamk_f32 v45, v58, 0xbe11bafb, v63
	s_delay_alu instid0(VALU_DEP_3) | instskip(SKIP_1) | instid1(VALU_DEP_3)
	v_add_f32_e32 v39, v59, v39
	v_fma_f32 v59, 0xbe11bafb, v58, -v63
	v_add_f32_e32 v45, v45, v64
	s_delay_alu instid0(VALU_DEP_2) | instskip(SKIP_2) | instid1(VALU_DEP_2)
	v_add_f32_e32 v59, v59, v61
	v_mul_f32_e32 v63, 0xbe903f40, v33
	v_mul_f32_e32 v33, 0x3f68dda4, v33
	v_fmamk_f32 v61, v58, 0xbf75a155, v63
	s_delay_alu instid0(VALU_DEP_1) | instskip(SKIP_1) | instid1(VALU_DEP_4)
	v_add_f32_e32 v32, v61, v35
	v_fma_f32 v35, 0xbf75a155, v58, -v63
	v_fmamk_f32 v61, v58, 0x3ed4b147, v33
	v_fmamk_f32 v71, v58, 0x3f575c64, v44
	v_fma_f32 v44, 0x3f575c64, v58, -v44
	v_fma_f32 v33, 0x3ed4b147, v58, -v33
	v_add_f32_e32 v35, v35, v36
	v_add_f32_e32 v36, v61, v60
	v_mul_f32_e32 v58, 0x3f0a6770, v3
	v_fmamk_f32 v60, v56, 0xbf75a155, v57
	v_fma_f32 v57, 0xbf75a155, v56, -v57
	v_dual_add_f32 v33, v33, v34 :: v_dual_mul_f32 v34, 0xbf4178ce, v3
	s_delay_alu instid0(VALU_DEP_4) | instskip(SKIP_1) | instid1(VALU_DEP_4)
	v_fmamk_f32 v61, v56, 0x3f575c64, v58
	v_fma_f32 v58, 0x3f575c64, v56, -v58
	v_add_f32_e32 v39, v57, v39
	v_mul_f32_e32 v57, 0x3f68dda4, v3
	v_add_f32_e32 v37, v60, v37
	v_fmamk_f32 v60, v56, 0xbf27a4f4, v34
	v_add_f32_e32 v58, v58, v59
	v_mul_f32_e32 v3, 0xbf7d64f0, v3
	v_fmamk_f32 v59, v56, 0x3ed4b147, v57
	v_fma_f32 v57, 0x3ed4b147, v56, -v57
	v_add_f32_e32 v44, v44, v62
	v_fma_f32 v34, 0xbf27a4f4, v56, -v34
	s_delay_alu instid0(VALU_DEP_4) | instskip(SKIP_1) | instid1(VALU_DEP_1)
	v_dual_add_f32 v45, v61, v45 :: v_dual_add_f32 v32, v59, v32
	v_add_f32_e32 v47, v71, v47
	v_add_f32_e32 v47, v60, v47
	v_fmamk_f32 v60, v56, 0xbe11bafb, v3
	v_fma_f32 v3, 0xbe11bafb, v56, -v3
	s_delay_alu instid0(VALU_DEP_2) | instskip(NEXT) | instid1(VALU_DEP_2)
	v_dual_add_f32 v35, v57, v35 :: v_dual_add_f32 v36, v60, v36
	v_add_f32_e32 v3, v3, v33
	v_add_f32_e32 v33, v34, v44
	ds_store_2addr_b32 v2, v38, v37 offset1:7
	ds_store_2addr_b32 v2, v45, v47 offset0:14 offset1:21
	ds_store_2addr_b32 v2, v32, v36 offset0:28 offset1:35
	;; [unrolled: 1-line block ×4, first 2 shown]
	ds_store_b32 v2, v39 offset:280
.LBB0_21:
	s_or_b32 exec_lo, exec_lo, s1
	v_dual_mov_b32 v45, 0 :: v_dual_lshlrev_b32 v44, 2, v113
	v_subrev_nc_u32_e32 v32, 22, v113
	v_cmp_gt_u32_e64 s0, 22, v113
	s_waitcnt lgkmcnt(0)
	s_barrier
	v_lshlrev_b64 v[2:3], 3, v[44:45]
	buffer_gl0_inv
	v_cndmask_b32_e64 v32, v32, v114, s0
	v_add_co_u32 v46, s0, s8, v2
	s_delay_alu instid0(VALU_DEP_1)
	v_add_co_ci_u32_e64 v47, s0, s9, v3, s0
	global_load_b128 v[61:64], v[46:47], off offset:560
	v_lshlrev_b32_e32 v44, 2, v32
	v_mul_lo_u16 v32, 0xd5, v70
	global_load_b128 v[89:92], v[46:47], off offset:576
	v_lshlrev_b64 v[2:3], 3, v[44:45]
	v_lshrrev_b16 v34, 14, v32
	v_mul_lo_u16 v32, 0xd5, v74
	s_delay_alu instid0(VALU_DEP_3) | instskip(NEXT) | instid1(VALU_DEP_1)
	v_add_co_u32 v2, s0, s8, v2
	v_add_co_ci_u32_e64 v3, s0, s9, v3, s0
	v_cmp_lt_u32_e64 s0, 21, v113
	s_clause 0x1
	global_load_b128 v[93:96], v[2:3], off offset:560
	global_load_b128 v[97:100], v[2:3], off offset:576
	v_mul_lo_u16 v2, 0x4d, v34
	v_lshrrev_b16 v3, 14, v32
	v_add_nc_u32_e32 v32, 0x113, v113
	s_delay_alu instid0(VALU_DEP_3) | instskip(NEXT) | instid1(VALU_DEP_3)
	v_sub_nc_u16 v2, v115, v2
	v_mul_lo_u16 v3, 0x4d, v3
	s_delay_alu instid0(VALU_DEP_2) | instskip(NEXT) | instid1(VALU_DEP_2)
	v_and_b32_e32 v58, 0xff, v2
	v_sub_nc_u16 v2, v116, v3
	s_delay_alu instid0(VALU_DEP_2) | instskip(SKIP_3) | instid1(VALU_DEP_2)
	v_lshlrev_b32_e32 v3, 5, v58
	global_load_b128 v[101:104], v3, s[8:9] offset:560
	v_and_b32_e32 v35, 0xff, v2
	v_add_nc_u32_e32 v33, 0x14a, v113
	v_lshlrev_b32_e32 v2, 5, v35
	s_clause 0x2
	global_load_b128 v[105:108], v3, s[8:9] offset:576
	global_load_b128 v[109:112], v2, s[8:9] offset:560
	;; [unrolled: 1-line block ×3, first 2 shown]
	v_and_b32_e32 v2, 0xffff, v118
	v_and_b32_e32 v3, 0xffff, v33
	s_delay_alu instid0(VALU_DEP_2) | instskip(NEXT) | instid1(VALU_DEP_1)
	v_mul_u32_u24_e32 v2, 0x1a99, v2
	v_lshrrev_b32_e32 v36, 19, v2
	s_delay_alu instid0(VALU_DEP_1) | instskip(NEXT) | instid1(VALU_DEP_1)
	v_mul_lo_u16 v2, 0x4d, v36
	v_sub_nc_u16 v2, v118, v2
	s_delay_alu instid0(VALU_DEP_1) | instskip(NEXT) | instid1(VALU_DEP_1)
	v_and_b32_e32 v59, 0xffff, v2
	v_lshlrev_b32_e32 v2, 5, v59
	s_clause 0x1
	global_load_b128 v[123:126], v2, s[8:9] offset:560
	global_load_b128 v[127:130], v2, s[8:9] offset:576
	v_and_b32_e32 v2, 0xffff, v32
	s_delay_alu instid0(VALU_DEP_1) | instskip(NEXT) | instid1(VALU_DEP_1)
	v_mul_u32_u24_e32 v2, 0x1a99, v2
	v_lshrrev_b32_e32 v56, 19, v2
	v_mul_u32_u24_e32 v2, 0x1a99, v3
	s_delay_alu instid0(VALU_DEP_2) | instskip(NEXT) | instid1(VALU_DEP_2)
	v_mul_lo_u16 v3, 0x4d, v56
	v_lshrrev_b32_e32 v2, 19, v2
	s_delay_alu instid0(VALU_DEP_2) | instskip(NEXT) | instid1(VALU_DEP_2)
	v_sub_nc_u16 v3, v32, v3
	v_mul_lo_u16 v2, 0x4d, v2
	s_delay_alu instid0(VALU_DEP_2) | instskip(NEXT) | instid1(VALU_DEP_2)
	v_and_b32_e32 v73, 0xffff, v3
	v_sub_nc_u16 v2, v33, v2
	s_delay_alu instid0(VALU_DEP_2) | instskip(NEXT) | instid1(VALU_DEP_2)
	v_lshlrev_b32_e32 v3, 5, v73
	v_and_b32_e32 v57, 0xffff, v2
	global_load_b128 v[131:134], v3, s[8:9] offset:560
	v_lshlrev_b32_e32 v2, 5, v57
	s_clause 0x2
	global_load_b128 v[135:138], v3, s[8:9] offset:576
	global_load_b128 v[139:142], v2, s[8:9] offset:560
	;; [unrolled: 1-line block ×3, first 2 shown]
	ds_load_2addr_b32 v[70:71], v48 offset0:129 offset1:184
	ds_load_2addr_b32 v[78:79], v49 offset0:75 offset1:130
	;; [unrolled: 1-line block ×6, first 2 shown]
	ds_load_b32 v74, v84
	ds_load_b32 v37, v85
	ds_load_2addr_b32 v[153:154], v67 offset0:111 offset1:166
	ds_load_2addr_b32 v[155:156], v68 offset0:113 offset1:168
	ds_load_b32 v38, v88
	ds_load_2addr_b32 v[157:158], v65 offset0:167 offset1:222
	ds_load_2addr_b32 v[159:160], v66 offset0:169 offset1:224
	ds_load_b32 v87, v117
	ds_load_b32 v39, v80
	ds_load_2addr_b32 v[161:162], v69 offset0:93 offset1:148
	ds_load_2addr_b32 v[163:164], v72 offset0:95 offset1:150
	;; [unrolled: 1-line block ×5, first 2 shown]
	s_waitcnt vmcnt(0) lgkmcnt(0)
	s_barrier
	buffer_gl0_inv
	v_mul_f32_e32 v86, v79, v64
	v_dual_mul_f32 v64, v5, v64 :: v_dual_mul_f32 v169, v82, v90
	v_mul_f32_e32 v90, v28, v90
	v_mul_f32_e32 v170, v148, v92
	;; [unrolled: 1-line block ×3, first 2 shown]
	v_fma_f32 v5, v5, v63, -v86
	v_fma_f32 v28, v28, v89, -v169
	v_lshlrev_b32_e32 v60, 2, v58
	v_dual_mul_f32 v73, v70, v62 :: v_dual_lshlrev_b32 v58, 2, v73
	v_dual_mul_f32 v62, v30, v62 :: v_dual_lshlrev_b32 v59, 2, v59
	v_fmac_f32_e32 v90, v82, v89
	v_fmac_f32_e32 v64, v79, v63
	s_delay_alu instid0(VALU_DEP_4) | instskip(NEXT) | instid1(VALU_DEP_4)
	v_fma_f32 v30, v30, v61, -v73
	v_fmac_f32_e32 v62, v70, v61
	v_fma_f32 v70, v7, v91, -v170
	v_dual_fmac_f32 v92, v148, v91 :: v_dual_mul_f32 v7, v71, v94
	v_mul_f32_e32 v73, v31, v94
	v_mul_f32_e32 v61, v149, v96
	s_delay_alu instid0(VALU_DEP_4)
	v_add_f32_e32 v169, v30, v70
	v_mul_f32_e32 v79, v26, v96
	v_mul_f32_e32 v63, v83, v98
	v_dual_mul_f32 v82, v29, v98 :: v_dual_add_f32 v177, v62, v92
	v_dual_mul_f32 v86, v151, v100 :: v_dual_sub_f32 v171, v28, v70
	v_mul_f32_e32 v89, v24, v100
	v_dual_add_f32 v91, v51, v30 :: v_dual_add_f32 v94, v5, v28
	v_dual_add_f32 v173, v64, v90 :: v_dual_sub_f32 v96, v62, v92
	v_sub_f32_e32 v100, v30, v5
	v_sub_f32_e32 v170, v5, v30
	v_add_f32_e32 v172, v87, v62
	v_dual_sub_f32 v174, v30, v70 :: v_dual_fmac_f32 v89, v151, v99
	v_sub_f32_e32 v30, v62, v64
	v_sub_f32_e32 v62, v64, v62
	v_dual_sub_f32 v178, v90, v92 :: v_dual_mul_f32 v179, v153, v102
	v_mul_f32_e32 v102, v22, v102
	v_mul_f32_e32 v180, v150, v104
	;; [unrolled: 1-line block ×3, first 2 shown]
	v_dual_sub_f32 v98, v64, v90 :: v_dual_fmac_f32 v73, v71, v93
	v_dual_mul_f32 v182, v152, v108 :: v_dual_mul_f32 v183, v154, v110
	v_mul_f32_e32 v185, v156, v120
	v_dual_sub_f32 v148, v70, v28 :: v_dual_fmac_f32 v79, v149, v95
	v_sub_f32_e32 v175, v5, v28
	v_mul_f32_e32 v181, v155, v106
	v_mul_f32_e32 v106, v20, v106
	;; [unrolled: 1-line block ×5, first 2 shown]
	v_fma_f32 v187, v31, v93, -v7
	v_fma_f32 v71, v26, v95, -v61
	;; [unrolled: 1-line block ×3, first 2 shown]
	v_add_f32_e32 v7, v91, v5
	v_fma_f32 v5, -0.5, v173, v87
	v_dual_mul_f32 v110, v23, v110 :: v_dual_fmac_f32 v87, -0.5, v177
	v_mul_f32_e32 v120, v21, v120
	v_fma_f32 v22, v22, v101, -v179
	v_fmac_f32_e32 v102, v153, v101
	v_fma_f32 v29, v27, v103, -v180
	v_fma_f32 v101, v21, v119, -v185
	v_dual_sub_f32 v176, v92, v90 :: v_dual_add_f32 v91, v170, v171
	v_fma_f32 v95, v20, v105, -v181
	v_sub_f32_e32 v151, v71, v93
	v_mul_f32_e32 v21, v161, v124
	v_dual_mul_f32 v31, v14, v124 :: v_dual_fmac_f32 v82, v83, v97
	v_fma_f32 v83, v24, v99, -v86
	v_fma_f32 v24, -0.5, v94, v51
	v_fmac_f32_e32 v51, -0.5, v169
	s_delay_alu instid0(VALU_DEP_4)
	v_fmac_f32_e32 v31, v161, v123
	v_mul_f32_e32 v184, v157, v112
	v_fma_f32 v99, v23, v109, -v183
	v_mul_f32_e32 v23, v158, v126
	v_fma_f32 v97, v25, v107, -v182
	v_mul_f32_e32 v61, v17, v126
	v_dual_add_f32 v94, v62, v178 :: v_dual_mul_f32 v25, v163, v128
	v_mul_f32_e32 v62, v12, v128
	v_mul_f32_e32 v27, v160, v130
	s_delay_alu instid0(VALU_DEP_4)
	v_dual_fmac_f32 v61, v158, v125 :: v_dual_mul_f32 v112, v16, v112
	v_add_f32_e32 v86, v100, v148
	v_add_f32_e32 v26, v172, v64
	v_dual_fmac_f32 v104, v150, v103 :: v_dual_add_f32 v149, v79, v82
	v_dual_fmac_f32 v106, v155, v105 :: v_dual_sub_f32 v153, v89, v82
	v_fma_f32 v103, v18, v121, -v186
	v_fmac_f32_e32 v122, v159, v121
	v_dual_mul_f32 v63, v19, v130 :: v_dual_fmac_f32 v108, v152, v107
	v_dual_add_f32 v105, v7, v28 :: v_dual_fmamk_f32 v18, v98, 0xbf737871, v51
	v_fmac_f32_e32 v51, 0x3f737871, v98
	v_fma_f32 v100, v16, v111, -v184
	v_fmamk_f32 v7, v174, 0xbf737871, v5
	v_dual_fmac_f32 v110, v154, v109 :: v_dual_fmac_f32 v5, 0x3f737871, v174
	v_fmamk_f32 v16, v175, 0x3f737871, v87
	v_fmac_f32_e32 v87, 0xbf737871, v175
	v_dual_fmac_f32 v120, v156, v119 :: v_dual_sub_f32 v155, v82, v89
	v_add_f32_e32 v107, v55, v187
	v_add_f32_e32 v109, v71, v93
	;; [unrolled: 1-line block ×3, first 2 shown]
	v_fma_f32 v156, v14, v123, -v21
	v_fma_f32 v123, v17, v125, -v23
	;; [unrolled: 1-line block ×3, first 2 shown]
	v_mul_f32_e32 v17, v11, v142
	v_fmac_f32_e32 v62, v163, v127
	v_fma_f32 v127, v19, v129, -v27
	v_mul_f32_e32 v19, v6, v144
	v_dual_add_f32 v64, v30, v176 :: v_dual_sub_f32 v119, v79, v82
	v_fmac_f32_e32 v112, v157, v111
	v_dual_fmamk_f32 v20, v96, 0x3f737871, v24 :: v_dual_mul_f32 v27, v10, v134
	v_dual_fmac_f32 v24, 0xbf737871, v96 :: v_dual_fmac_f32 v63, v160, v129
	v_dual_add_f32 v90, v26, v90 :: v_dual_sub_f32 v161, v97, v95
	v_sub_f32_e32 v111, v73, v89
	v_sub_f32_e32 v121, v187, v71
	v_dual_sub_f32 v124, v83, v93 :: v_dual_sub_f32 v159, v104, v106
	v_dual_sub_f32 v128, v71, v187 :: v_dual_sub_f32 v169, v29, v22
	;; [unrolled: 1-line block ×3, first 2 shown]
	v_dual_add_f32 v148, v74, v73 :: v_dual_add_f32 v171, v37, v102
	v_dual_sub_f32 v152, v73, v79 :: v_dual_add_f32 v179, v102, v108
	v_dual_add_f32 v154, v73, v89 :: v_dual_add_f32 v181, v50, v99
	v_sub_f32_e32 v73, v79, v73
	v_mul_f32_e32 v129, v162, v132
	v_dual_mul_f32 v26, v15, v132 :: v_dual_add_f32 v25, v105, v70
	v_dual_mul_f32 v132, v165, v134 :: v_dual_sub_f32 v185, v99, v100
	v_mul_f32_e32 v134, v164, v136
	v_dual_mul_f32 v28, v13, v136 :: v_dual_fmac_f32 v7, 0xbf167918, v175
	v_dual_mul_f32 v136, v167, v138 :: v_dual_fmac_f32 v51, 0xbf167918, v96
	v_dual_mul_f32 v30, v8, v138 :: v_dual_add_f32 v21, v90, v92
	v_dual_mul_f32 v138, v78, v140 :: v_dual_fmac_f32 v5, 0x3f167918, v175
	v_dual_mul_f32 v14, v4, v140 :: v_dual_fmac_f32 v87, 0x3f167918, v174
	v_mul_f32_e32 v140, v166, v142
	v_dual_mul_f32 v12, v9, v146 :: v_dual_add_f32 v79, v148, v79
	v_dual_sub_f32 v158, v102, v108 :: v_dual_fmac_f32 v19, v147, v143
	v_dual_add_f32 v163, v22, v97 :: v_dual_mul_f32 v142, v147, v144
	v_dual_mul_f32 v144, v168, v146 :: v_dual_add_f32 v73, v73, v155
	v_dual_add_f32 v146, v54, v22 :: v_dual_fmac_f32 v27, v165, v133
	v_dual_add_f32 v172, v104, v106 :: v_dual_fmac_f32 v17, v166, v141
	v_add_f32_e32 v70, v107, v71
	v_fma_f32 v23, -0.5, v109, v55
	v_dual_fmac_f32 v55, -0.5, v126 :: v_dual_sub_f32 v150, v187, v83
	v_sub_f32_e32 v177, v102, v104
	v_sub_f32_e32 v160, v22, v29
	;; [unrolled: 1-line block ×3, first 2 shown]
	v_dual_sub_f32 v102, v104, v102 :: v_dual_fmac_f32 v7, 0x3e9e377a, v64
	v_dual_add_f32 v182, v100, v101 :: v_dual_fmac_f32 v5, 0x3e9e377a, v64
	v_sub_f32_e32 v184, v112, v120
	v_sub_f32_e32 v186, v103, v101
	v_add_f32_e32 v187, v99, v103
	v_dual_add_f32 v71, v121, v124 :: v_dual_add_f32 v90, v128, v130
	v_fma_f32 v105, v13, v135, -v134
	v_fma_f32 v109, v4, v139, -v138
	v_fma_f32 v124, v9, v145, -v144
	v_add_f32_e32 v9, v146, v29
	v_fma_f32 v4, -0.5, v172, v37
	v_fmac_f32_e32 v37, -0.5, v179
	v_dual_add_f32 v13, v70, v93 :: v_dual_fmac_f32 v20, 0x3f167918, v98
	v_fmamk_f32 v64, v111, 0x3f737871, v23
	v_fmac_f32_e32 v23, 0xbf737871, v111
	v_fmac_f32_e32 v24, 0xbf167918, v98
	v_fma_f32 v98, v10, v133, -v132
	v_add_f32_e32 v10, v171, v104
	v_fmamk_f32 v70, v119, 0xbf737871, v55
	v_fmac_f32_e32 v55, 0x3f737871, v119
	v_dual_add_f32 v157, v29, v95 :: v_dual_sub_f32 v170, v95, v97
	v_dual_sub_f32 v178, v108, v106 :: v_dual_fmac_f32 v51, 0x3e9e377a, v91
	v_dual_sub_f32 v180, v106, v108 :: v_dual_fmac_f32 v87, 0x3e9e377a, v94
	v_dual_fmac_f32 v18, 0x3f167918, v96 :: v_dual_add_f32 v79, v79, v82
	v_dual_fmac_f32 v16, 0xbf167918, v174 :: v_dual_fmac_f32 v55, 0xbf167918, v111
	v_fma_f32 v22, -0.5, v149, v74
	v_fmac_f32_e32 v74, -0.5, v154
	v_dual_fmac_f32 v28, v164, v135 :: v_dual_add_f32 v93, v10, v106
	v_fmac_f32_e32 v14, v78, v139
	v_fma_f32 v78, v11, v141, -v140
	v_dual_add_f32 v126, v160, v161 :: v_dual_add_f32 v11, v181, v100
	v_add_f32_e32 v82, v9, v95
	v_fmamk_f32 v9, v173, 0xbf737871, v4
	v_fmamk_f32 v10, v176, 0x3f737871, v37
	v_fmac_f32_e32 v37, 0xbf737871, v176
	v_fmac_f32_e32 v23, 0xbf167918, v119
	v_sub_f32_e32 v183, v110, v122
	v_fma_f32 v96, v15, v131, -v129
	v_fma_f32 v107, v8, v137, -v136
	;; [unrolled: 1-line block ×3, first 2 shown]
	v_dual_add_f32 v128, v169, v170 :: v_dual_fmac_f32 v9, 0xbf167918, v176
	v_dual_add_f32 v104, v177, v178 :: v_dual_fmac_f32 v23, 0x3e9e377a, v71
	v_dual_add_f32 v102, v102, v180 :: v_dual_fmac_f32 v55, 0x3e9e377a, v90
	v_fma_f32 v15, -0.5, v182, v50
	s_delay_alu instid0(VALU_DEP_3)
	v_dual_fmac_f32 v16, 0x3e9e377a, v94 :: v_dual_fmac_f32 v9, 0x3e9e377a, v104
	v_fmamk_f32 v6, v150, 0xbf737871, v22
	v_fmac_f32_e32 v22, 0x3f737871, v150
	v_fmamk_f32 v8, v151, 0x3f737871, v74
	v_fmac_f32_e32 v37, 0x3f167918, v173
	v_add_f32_e32 v94, v11, v101
	v_add_f32_e32 v11, v79, v89
	v_sub_f32_e32 v89, v100, v99
	v_fmac_f32_e32 v74, 0xbf737871, v151
	v_dual_fmac_f32 v26, v162, v131 :: v_dual_fmamk_f32 v95, v183, 0x3f737871, v15
	v_dual_add_f32 v83, v13, v83 :: v_dual_fmac_f32 v20, 0x3e9e377a, v86
	s_delay_alu instid0(VALU_DEP_3) | instskip(SKIP_3) | instid1(VALU_DEP_4)
	v_dual_add_f32 v13, v93, v108 :: v_dual_fmac_f32 v74, 0x3f167918, v150
	v_dual_add_f32 v93, v112, v120 :: v_dual_fmac_f32 v8, 0xbf167918, v150
	v_fma_f32 v29, -0.5, v157, v54
	v_fmac_f32_e32 v64, 0x3f167918, v119
	v_fmac_f32_e32 v74, 0x3e9e377a, v73
	v_dual_fmac_f32 v95, 0x3f167918, v184 :: v_dual_fmac_f32 v54, -0.5, v163
	v_dual_add_f32 v79, v82, v97 :: v_dual_fmac_f32 v50, -0.5, v187
	v_fmac_f32_e32 v37, 0x3e9e377a, v102
	v_dual_sub_f32 v97, v100, v101 :: v_dual_sub_f32 v100, v122, v120
	v_dual_add_f32 v106, v156, v127 :: v_dual_add_f32 v119, v27, v28
	v_dual_fmac_f32 v8, 0x3e9e377a, v73 :: v_dual_add_f32 v73, v94, v103
	v_fmac_f32_e32 v70, 0x3f167918, v111
	v_dual_fmac_f32 v64, 0x3e9e377a, v71 :: v_dual_add_f32 v71, v185, v186
	v_fmamk_f32 v82, v184, 0xbf737871, v50
	v_fmac_f32_e32 v50, 0x3f737871, v184
	s_delay_alu instid0(VALU_DEP_4)
	v_fmac_f32_e32 v70, 0x3e9e377a, v90
	v_sub_f32_e32 v90, v101, v103
	v_add_f32_e32 v92, v152, v153
	v_fmac_f32_e32 v22, 0x3f167918, v151
	v_fmac_f32_e32 v15, 0xbf737871, v183
	;; [unrolled: 1-line block ×3, first 2 shown]
	v_dual_fmac_f32 v82, 0x3f167918, v183 :: v_dual_sub_f32 v111, v63, v62
	v_dual_add_f32 v89, v89, v90 :: v_dual_fmac_f32 v50, 0xbf167918, v183
	v_fmac_f32_e32 v18, 0x3e9e377a, v91
	v_fmamk_f32 v91, v159, 0xbf737871, v54
	v_fmac_f32_e32 v15, 0xbf167918, v184
	v_fmac_f32_e32 v6, 0x3e9e377a, v92
	;; [unrolled: 1-line block ×3, first 2 shown]
	v_dual_fmac_f32 v50, 0x3e9e377a, v89 :: v_dual_sub_f32 v89, v112, v110
	v_fmac_f32_e32 v22, 0x3e9e377a, v92
	v_add_f32_e32 v92, v38, v110
	v_dual_fmac_f32 v12, v168, v145 :: v_dual_fmac_f32 v91, 0x3f167918, v158
	v_fmac_f32_e32 v24, 0x3e9e377a, v86
	v_fmamk_f32 v86, v158, 0x3f737871, v29
	s_delay_alu instid0(VALU_DEP_4)
	v_add_f32_e32 v90, v92, v112
	v_fmac_f32_e32 v54, 0x3f737871, v159
	v_fmac_f32_e32 v4, 0x3f737871, v173
	;; [unrolled: 1-line block ×3, first 2 shown]
	v_fma_f32 v92, -0.5, v93, v38
	v_sub_f32_e32 v93, v99, v103
	v_sub_f32_e32 v99, v110, v112
	v_fmac_f32_e32 v15, 0x3e9e377a, v71
	v_add_f32_e32 v71, v90, v120
	v_add_f32_e32 v90, v110, v122
	v_fmac_f32_e32 v29, 0xbf737871, v158
	v_fmac_f32_e32 v4, 0x3f167918, v176
	v_fmamk_f32 v94, v93, 0xbf737871, v92
	v_fmac_f32_e32 v92, 0x3f737871, v93
	v_fmac_f32_e32 v38, -0.5, v90
	v_dual_fmac_f32 v30, v167, v137 :: v_dual_fmac_f32 v29, 0xbf167918, v159
	v_dual_fmac_f32 v54, 0xbf167918, v158 :: v_dual_sub_f32 v103, v156, v123
	v_dual_add_f32 v101, v71, v122 :: v_dual_fmac_f32 v94, 0xbf167918, v97
	v_add_f32_e32 v71, v99, v100
	v_dual_fmamk_f32 v99, v97, 0x3f737871, v38 :: v_dual_sub_f32 v90, v120, v122
	v_fmac_f32_e32 v86, 0x3f167918, v159
	v_add_f32_e32 v100, v123, v125
	v_fmac_f32_e32 v92, 0x3f167918, v97
	v_dual_fmac_f32 v38, 0xbf737871, v97 :: v_dual_sub_f32 v97, v61, v62
	v_fmac_f32_e32 v4, 0x3e9e377a, v104
	v_sub_f32_e32 v104, v127, v125
	v_fmac_f32_e32 v10, 0xbf167918, v173
	v_fmac_f32_e32 v99, 0xbf167918, v93
	v_add_f32_e32 v89, v89, v90
	v_fmac_f32_e32 v86, 0x3e9e377a, v126
	v_add_f32_e32 v90, v53, v156
	v_fma_f32 v100, -0.5, v100, v53
	v_dual_fmac_f32 v38, 0x3f167918, v93 :: v_dual_add_f32 v93, v103, v104
	v_fmac_f32_e32 v53, -0.5, v106
	v_dual_sub_f32 v103, v123, v156 :: v_dual_sub_f32 v104, v125, v127
	v_add_f32_e32 v108, v61, v62
	v_dual_fmac_f32 v10, 0x3e9e377a, v102 :: v_dual_fmac_f32 v99, 0x3e9e377a, v89
	v_fmac_f32_e32 v38, 0x3e9e377a, v89
	v_fmamk_f32 v89, v97, 0xbf737871, v53
	v_add_f32_e32 v103, v103, v104
	v_fmac_f32_e32 v53, 0x3f737871, v97
	v_fma_f32 v104, -0.5, v108, v39
	v_sub_f32_e32 v108, v123, v125
	v_sub_f32_e32 v102, v31, v63
	v_fmac_f32_e32 v94, 0x3e9e377a, v71
	v_fmac_f32_e32 v92, 0x3e9e377a, v71
	v_add_f32_e32 v71, v90, v123
	v_add_f32_e32 v106, v39, v31
	v_fmamk_f32 v90, v102, 0x3f737871, v100
	v_fmac_f32_e32 v100, 0xbf737871, v102
	v_fmac_f32_e32 v89, 0x3f167918, v102
	v_dual_fmac_f32 v53, 0xbf167918, v102 :: v_dual_add_f32 v102, v31, v63
	v_fmac_f32_e32 v54, 0x3e9e377a, v128
	v_fmac_f32_e32 v90, 0x3f167918, v97
	;; [unrolled: 1-line block ×3, first 2 shown]
	v_add_f32_e32 v97, v106, v61
	v_dual_sub_f32 v110, v31, v61 :: v_dual_fmac_f32 v39, -0.5, v102
	v_sub_f32_e32 v31, v61, v31
	v_sub_f32_e32 v61, v62, v63
	;; [unrolled: 1-line block ×3, first 2 shown]
	v_fmac_f32_e32 v89, 0x3e9e377a, v103
	v_fmac_f32_e32 v53, 0x3e9e377a, v103
	v_dual_add_f32 v102, v110, v111 :: v_dual_fmamk_f32 v103, v108, 0x3f737871, v39
	v_add_f32_e32 v31, v31, v61
	v_add_f32_e32 v61, v0, v96
	v_dual_fmac_f32 v39, 0xbf737871, v108 :: v_dual_sub_f32 v110, v96, v98
	v_sub_f32_e32 v111, v107, v105
	v_fmac_f32_e32 v90, 0x3e9e377a, v93
	v_dual_fmac_f32 v100, 0x3e9e377a, v93 :: v_dual_add_f32 v93, v97, v62
	v_fmamk_f32 v97, v106, 0xbf737871, v104
	v_fmac_f32_e32 v104, 0x3f737871, v106
	v_fmac_f32_e32 v103, 0xbf167918, v106
	v_dual_add_f32 v61, v61, v98 :: v_dual_add_f32 v112, v96, v107
	v_dual_fmac_f32 v39, 0x3f167918, v106 :: v_dual_add_f32 v106, v110, v111
	v_sub_f32_e32 v110, v98, v96
	v_sub_f32_e32 v96, v96, v107
	v_dual_add_f32 v62, v98, v105 :: v_dual_fmac_f32 v97, 0xbf167918, v108
	v_fmac_f32_e32 v104, 0x3f167918, v108
	v_dual_sub_f32 v108, v27, v28 :: v_dual_add_f32 v61, v61, v105
	s_delay_alu instid0(VALU_DEP_3)
	v_fma_f32 v62, -0.5, v62, v0
	v_fma_f32 v0, -0.5, v112, v0
	v_add_f32_e32 v93, v93, v63
	v_sub_f32_e32 v63, v26, v30
	v_fmac_f32_e32 v103, 0x3e9e377a, v31
	v_fmac_f32_e32 v39, 0x3e9e377a, v31
	v_add_f32_e32 v31, v61, v107
	v_fmamk_f32 v61, v108, 0xbf737871, v0
	v_dual_sub_f32 v111, v105, v107 :: v_dual_fmac_f32 v0, 0x3f737871, v108
	v_fmac_f32_e32 v97, 0x3e9e377a, v102
	v_fmac_f32_e32 v104, 0x3e9e377a, v102
	s_delay_alu instid0(VALU_DEP_4) | instskip(NEXT) | instid1(VALU_DEP_4)
	v_fmac_f32_e32 v61, 0x3f167918, v63
	v_add_f32_e32 v110, v110, v111
	v_fmac_f32_e32 v0, 0xbf167918, v63
	v_add_f32_e32 v112, v2, v26
	v_fma_f32 v111, -0.5, v119, v2
	v_add_f32_e32 v107, v26, v30
	v_fmac_f32_e32 v61, 0x3e9e377a, v110
	v_fmac_f32_e32 v0, 0x3e9e377a, v110
	v_add_f32_e32 v110, v109, v124
	v_fmamk_f32 v102, v63, 0x3f737871, v62
	v_fmac_f32_e32 v62, 0xbf737871, v63
	v_fmac_f32_e32 v29, 0x3e9e377a, v126
	v_dual_fmac_f32 v91, 0x3e9e377a, v128 :: v_dual_sub_f32 v98, v98, v105
	s_delay_alu instid0(VALU_DEP_4) | instskip(NEXT) | instid1(VALU_DEP_4)
	v_fmac_f32_e32 v102, 0x3f167918, v108
	v_fmac_f32_e32 v62, 0xbf167918, v108
	v_add_f32_e32 v108, v112, v27
	v_sub_f32_e32 v105, v26, v27
	v_fma_f32 v2, -0.5, v107, v2
	v_fmac_f32_e32 v102, 0x3e9e377a, v106
	s_delay_alu instid0(VALU_DEP_4)
	v_dual_fmac_f32 v62, 0x3e9e377a, v106 :: v_dual_add_f32 v63, v108, v28
	v_fmamk_f32 v106, v96, 0xbf737871, v111
	v_sub_f32_e32 v108, v30, v28
	v_fmac_f32_e32 v111, 0x3f737871, v96
	ds_store_2addr_b32 v117, v25, v20 offset1:77
	ds_store_2addr_b32 v117, v18, v51 offset0:154 offset1:231
	ds_store_b32 v117, v24 offset:1232
	v_lshl_add_u32 v18, v35, 2, 0
	v_lshl_add_u32 v24, v57, 2, 0
	v_sub_f32_e32 v26, v27, v26
	v_dual_sub_f32 v27, v28, v30 :: v_dual_add_f32 v28, v78, v121
	v_add_f32_e32 v107, v63, v30
	v_dual_fmac_f32 v106, 0xbf167918, v98 :: v_dual_add_f32 v63, v105, v108
	v_fmamk_f32 v105, v98, 0x3f737871, v2
	s_delay_alu instid0(VALU_DEP_4)
	v_dual_fmac_f32 v111, 0x3f167918, v98 :: v_dual_add_f32 v26, v26, v27
	v_dual_fmac_f32 v2, 0xbf737871, v98 :: v_dual_add_f32 v27, v1, v109
	v_fma_f32 v28, -0.5, v28, v1
	v_sub_f32_e32 v30, v14, v12
	v_fmac_f32_e32 v106, 0x3e9e377a, v63
	v_fmac_f32_e32 v105, 0xbf167918, v96
	;; [unrolled: 1-line block ×3, first 2 shown]
	v_dual_fmac_f32 v2, 0x3f167918, v96 :: v_dual_add_f32 v27, v27, v78
	v_dual_fmamk_f32 v63, v30, 0x3f737871, v28 :: v_dual_sub_f32 v96, v17, v19
	v_sub_f32_e32 v98, v109, v78
	v_sub_f32_e32 v108, v124, v121
	s_delay_alu instid0(VALU_DEP_4) | instskip(NEXT) | instid1(VALU_DEP_4)
	v_dual_fmac_f32 v28, 0xbf737871, v30 :: v_dual_add_f32 v27, v27, v121
	v_fmac_f32_e32 v63, 0x3f167918, v96
	s_delay_alu instid0(VALU_DEP_3) | instskip(NEXT) | instid1(VALU_DEP_3)
	v_dual_fmac_f32 v1, -0.5, v110 :: v_dual_add_f32 v98, v98, v108
	v_fmac_f32_e32 v28, 0xbf167918, v96
	v_sub_f32_e32 v108, v78, v109
	v_dual_sub_f32 v110, v121, v124 :: v_dual_fmac_f32 v105, 0x3e9e377a, v26
	v_fmac_f32_e32 v2, 0x3e9e377a, v26
	v_dual_add_f32 v26, v27, v124 :: v_dual_fmac_f32 v63, 0x3e9e377a, v98
	v_fmac_f32_e32 v28, 0x3e9e377a, v98
	v_dual_fmamk_f32 v27, v96, 0xbf737871, v1 :: v_dual_add_f32 v98, v17, v19
	v_dual_fmac_f32 v1, 0x3f737871, v96 :: v_dual_add_f32 v108, v108, v110
	v_add_f32_e32 v110, v14, v12
	v_add_f32_e32 v96, v3, v14
	s_delay_alu instid0(VALU_DEP_4) | instskip(SKIP_4) | instid1(VALU_DEP_4)
	v_fma_f32 v98, -0.5, v98, v3
	v_fmac_f32_e32 v27, 0x3f167918, v30
	v_dual_fmac_f32 v1, 0xbf167918, v30 :: v_dual_sub_f32 v78, v78, v121
	v_fmac_f32_e32 v3, -0.5, v110
	v_dual_sub_f32 v109, v109, v124 :: v_dual_add_f32 v30, v96, v17
	v_fmac_f32_e32 v27, 0x3e9e377a, v108
	s_delay_alu instid0(VALU_DEP_4) | instskip(NEXT) | instid1(VALU_DEP_4)
	v_dual_fmac_f32 v1, 0x3e9e377a, v108 :: v_dual_sub_f32 v108, v14, v17
	v_fmamk_f32 v112, v78, 0x3f737871, v3
	v_dual_sub_f32 v14, v17, v14 :: v_dual_sub_f32 v17, v19, v12
	v_dual_fmac_f32 v3, 0xbf737871, v78 :: v_dual_fmamk_f32 v96, v109, 0xbf737871, v98
	s_delay_alu instid0(VALU_DEP_3) | instskip(SKIP_1) | instid1(VALU_DEP_4)
	v_fmac_f32_e32 v112, 0xbf167918, v109
	v_sub_f32_e32 v110, v12, v19
	v_add_f32_e32 v14, v14, v17
	s_delay_alu instid0(VALU_DEP_4)
	v_fmac_f32_e32 v3, 0x3f167918, v109
	v_cndmask_b32_e64 v17, 0, 0x604, s0
	v_fmac_f32_e32 v98, 0x3f737871, v109
	v_add_f32_e32 v30, v30, v19
	v_fmac_f32_e32 v112, 0x3e9e377a, v14
	v_fmac_f32_e32 v3, 0x3e9e377a, v14
	v_and_b32_e32 v14, 0xffff, v34
	v_add3_u32 v17, 0, v17, v44
	v_fmac_f32_e32 v96, 0xbf167918, v78
	v_add_f32_e32 v19, v108, v110
	v_fmac_f32_e32 v98, 0x3f167918, v78
	v_mul_u32_u24_e32 v14, 0x604, v14
	v_add_f32_e32 v71, v71, v125
	v_mul_u32_u24_e32 v20, 0x604, v36
	ds_store_2addr_b32 v17, v83, v64 offset1:77
	ds_store_2addr_b32 v17, v70, v55 offset0:154 offset1:231
	ds_store_b32 v17, v23 offset:1232
	v_mul_u32_u24_e32 v23, 0x604, v56
	v_add3_u32 v14, 0, v14, v60
	v_fmac_f32_e32 v96, 0x3e9e377a, v19
	v_fmac_f32_e32 v98, 0x3e9e377a, v19
	v_add_nc_u32_e32 v19, 0xc00, v18
	v_add_f32_e32 v71, v71, v127
	v_add3_u32 v20, 0, v20, v59
	ds_store_2addr_b32 v14, v79, v86 offset1:77
	ds_store_2addr_b32 v14, v91, v54 offset0:154 offset1:231
	ds_store_b32 v14, v29 offset:1232
	ds_store_2addr_b32 v19, v73, v95 offset0:2 offset1:79
	ds_store_b32 v18, v15 offset:4312
	v_add3_u32 v15, 0, v23, v58
	v_add_nc_u32_e32 v23, 0x1800, v24
	ds_store_2addr_b32 v19, v82, v50 offset0:156 offset1:233
	ds_store_2addr_b32 v20, v71, v90 offset1:77
	ds_store_2addr_b32 v20, v89, v53 offset0:154 offset1:231
	ds_store_b32 v20, v100 offset:1232
	ds_store_2addr_b32 v15, v31, v102 offset1:77
	ds_store_2addr_b32 v15, v61, v0 offset0:154 offset1:231
	ds_store_b32 v15, v62 offset:1232
	ds_store_2addr_b32 v23, v26, v63 offset0:4 offset1:81
	ds_store_2addr_b32 v23, v27, v1 offset0:158 offset1:235
	ds_store_b32 v24, v28 offset:7392
	s_waitcnt lgkmcnt(0)
	s_barrier
	buffer_gl0_inv
	ds_load_b32 v82, v117
	ds_load_2addr_b32 v[54:55], v48 offset0:129 offset1:184
	ds_load_2addr_b32 v[48:49], v49 offset0:75 offset1:130
	;; [unrolled: 1-line block ×8, first 2 shown]
	ds_load_b32 v89, v88
	ds_load_2addr_b32 v[64:65], v65 offset0:167 offset1:222
	ds_load_2addr_b32 v[66:67], v66 offset0:169 offset1:224
	ds_load_b32 v86, v85
	ds_load_b32 v83, v84
	;; [unrolled: 1-line block ×3, first 2 shown]
	ds_load_2addr_b32 v[70:71], v69 offset0:93 offset1:148
	ds_load_2addr_b32 v[72:73], v72 offset0:95 offset1:150
	;; [unrolled: 1-line block ×5, first 2 shown]
	v_add_f32_e32 v12, v30, v12
	s_waitcnt lgkmcnt(0)
	s_barrier
	buffer_gl0_inv
	ds_store_2addr_b32 v117, v21, v7 offset1:77
	ds_store_2addr_b32 v117, v16, v87 offset0:154 offset1:231
	ds_store_b32 v117, v5 offset:1232
	ds_store_2addr_b32 v17, v11, v6 offset1:77
	ds_store_2addr_b32 v17, v8, v74 offset0:154 offset1:231
	ds_store_b32 v17, v22 offset:1232
	;; [unrolled: 3-line block ×3, first 2 shown]
	ds_store_2addr_b32 v19, v101, v94 offset0:2 offset1:79
	ds_store_2addr_b32 v19, v99, v38 offset0:156 offset1:233
	ds_store_b32 v18, v92 offset:4312
	ds_store_2addr_b32 v20, v93, v97 offset1:77
	ds_store_2addr_b32 v20, v103, v39 offset0:154 offset1:231
	ds_store_b32 v20, v104 offset:1232
	ds_store_2addr_b32 v15, v107, v106 offset1:77
	ds_store_2addr_b32 v15, v105, v2 offset0:154 offset1:231
	ds_store_b32 v15, v111 offset:1232
	ds_store_2addr_b32 v23, v12, v96 offset0:4 offset1:81
	ds_store_2addr_b32 v23, v112, v3 offset0:158 offset1:235
	ds_store_b32 v24, v98 offset:7392
	s_waitcnt lgkmcnt(0)
	s_barrier
	buffer_gl0_inv
	s_and_saveexec_b32 s0, vcc_lo
	s_cbranch_execz .LBB0_23
; %bb.22:
	v_lshlrev_b32_e32 v44, 2, v33
	v_mul_lo_u32 v99, s3, v42
	v_mad_u64_u32 v[74:75], null, s2, v42, 0
	v_mul_lo_u32 v100, s2, v43
	s_delay_alu instid0(VALU_DEP_4) | instskip(NEXT) | instid1(VALU_DEP_1)
	v_lshlrev_b64 v[0:1], 3, v[44:45]
	v_add_co_u32 v0, vcc_lo, s8, v0
	s_delay_alu instid0(VALU_DEP_2) | instskip(NEXT) | instid1(VALU_DEP_4)
	v_add_co_ci_u32_e32 v1, vcc_lo, s9, v1, vcc_lo
	v_add3_u32 v75, v75, v100, v99
	s_clause 0x1
	global_load_b128 v[12:15], v[0:1], off offset:3024
	global_load_b128 v[8:11], v[0:1], off offset:3040
	v_lshlrev_b32_e32 v44, 2, v32
	v_add_nc_u32_e32 v102, 0x1600, v117
	v_add_nc_u32_e32 v42, 0xa00, v117
	;; [unrolled: 1-line block ×4, first 2 shown]
	v_lshlrev_b64 v[0:1], 3, v[44:45]
	v_lshlrev_b32_e32 v44, 2, v118
	v_lshlrev_b64 v[74:75], 3, v[74:75]
	s_delay_alu instid0(VALU_DEP_2) | instskip(NEXT) | instid1(VALU_DEP_4)
	v_lshlrev_b64 v[16:17], 3, v[44:45]
	v_add_co_u32 v0, vcc_lo, s8, v0
	v_add_co_ci_u32_e32 v1, vcc_lo, s9, v1, vcc_lo
	v_lshlrev_b32_e32 v44, 2, v116
	s_clause 0x1
	global_load_b128 v[4:7], v[0:1], off offset:3024
	global_load_b128 v[0:3], v[0:1], off offset:3040
	v_add_co_u32 v16, vcc_lo, s8, v16
	v_lshlrev_b64 v[24:25], 3, v[44:45]
	v_add_co_ci_u32_e32 v17, vcc_lo, s9, v17, vcc_lo
	v_lshlrev_b32_e32 v44, 2, v115
	s_clause 0x1
	global_load_b128 v[20:23], v[16:17], off offset:3024
	global_load_b128 v[16:19], v[16:17], off offset:3040
	v_add_co_u32 v24, vcc_lo, s8, v24
	v_add_co_ci_u32_e32 v25, vcc_lo, s9, v25, vcc_lo
	s_clause 0x1
	global_load_b128 v[36:39], v[24:25], off offset:3024
	global_load_b128 v[32:35], v[24:25], off offset:3040
	v_lshlrev_b64 v[24:25], 3, v[44:45]
	v_add_nc_u32_e32 v101, 0x1c00, v117
	v_add_nc_u32_e32 v81, 0x400, v81
	;; [unrolled: 1-line block ×3, first 2 shown]
	v_lshlrev_b32_e32 v44, 2, v114
	v_add_co_u32 v24, vcc_lo, s8, v24
	v_add_co_ci_u32_e32 v25, vcc_lo, s9, v25, vcc_lo
	s_clause 0x1
	global_load_b128 v[28:31], v[24:25], off offset:3024
	global_load_b128 v[24:27], v[24:25], off offset:3040
	ds_load_b32 v88, v88
	s_clause 0x1
	global_load_b128 v[91:94], v[46:47], off offset:3040
	global_load_b128 v[95:98], v[46:47], off offset:3024
	ds_load_b32 v132, v80
	ds_load_b32 v80, v117
	ds_load_2addr_b32 v[107:108], v42 offset0:75 offset1:130
	ds_load_2addr_b32 v[42:43], v87 offset0:21 offset1:76
	;; [unrolled: 1-line block ×6, first 2 shown]
	v_lshlrev_b64 v[44:45], 3, v[44:45]
	v_add_nc_u32_e32 v126, 0x1200, v117
	v_add_nc_u32_e32 v105, 0xc00, v117
	;; [unrolled: 1-line block ×3, first 2 shown]
	s_delay_alu instid0(VALU_DEP_4) | instskip(SKIP_4) | instid1(VALU_DEP_2)
	v_add_co_u32 v44, vcc_lo, s8, v44
	v_add_co_ci_u32_e32 v45, vcc_lo, s9, v45, vcc_lo
	s_waitcnt vmcnt(10) lgkmcnt(3)
	v_mul_f32_e32 v81, v10, v47
	v_dual_mul_f32 v47, v11, v47 :: v_dual_add_nc_u32 v106, 0x1800, v117
	v_fmac_f32_e32 v81, v77, v11
	s_delay_alu instid0(VALU_DEP_2)
	v_fma_f32 v10, v77, v10, -v47
	s_waitcnt vmcnt(8)
	v_mul_f32_e32 v47, v2, v46
	ds_load_2addr_b32 v[118:119], v104 offset0:95 offset1:150
	ds_load_2addr_b32 v[120:121], v105 offset0:167 offset1:222
	;; [unrolled: 1-line block ×7, first 2 shown]
	s_clause 0x1
	global_load_b128 v[99:102], v[44:45], off offset:3040
	global_load_b128 v[103:106], v[44:45], off offset:3024
	v_mul_f32_e32 v44, v12, v107
	s_waitcnt lgkmcnt(9)
	v_dual_mul_f32 v45, v14, v43 :: v_dual_mul_f32 v116, v8, v109
	v_mul_f32_e32 v43, v15, v43
	v_mul_f32_e32 v109, v9, v109
	;; [unrolled: 1-line block ×3, first 2 shown]
	s_delay_alu instid0(VALU_DEP_4)
	v_fmac_f32_e32 v45, v79, v15
	s_waitcnt lgkmcnt(7)
	v_mul_f32_e32 v15, v5, v115
	v_fmac_f32_e32 v47, v76, v3
	v_fma_f32 v8, v52, v8, -v109
	v_fmac_f32_e32 v116, v52, v9
	v_fma_f32 v9, v79, v14, -v43
	v_fma_f32 v11, v48, v12, -v107
	v_fmac_f32_e32 v44, v48, v13
	v_dual_mul_f32 v12, v4, v115 :: v_dual_mul_f32 v43, v6, v42
	s_waitcnt lgkmcnt(6)
	s_delay_alu instid0(VALU_DEP_3)
	v_dual_mul_f32 v48, v0, v119 :: v_dual_sub_f32 v79, v11, v10
	v_dual_mul_f32 v13, v7, v42 :: v_dual_mul_f32 v14, v1, v119
	v_mul_f32_e32 v42, v3, v46
	v_sub_f32_e32 v109, v11, v9
	v_dual_sub_f32 v115, v10, v8 :: v_dual_sub_f32 v46, v44, v45
	v_add_f32_e32 v107, v45, v116
	v_sub_f32_e32 v52, v81, v116
	v_dual_add_f32 v119, v9, v8 :: v_dual_sub_f32 v136, v116, v81
	v_dual_sub_f32 v133, v44, v81 :: v_dual_sub_f32 v134, v45, v116
	v_dual_sub_f32 v135, v45, v44 :: v_dual_add_f32 v140, v11, v10
	v_dual_add_f32 v137, v44, v81 :: v_dual_sub_f32 v138, v9, v11
	v_dual_sub_f32 v139, v8, v10 :: v_dual_fmac_f32 v12, v71, v5
	v_dual_add_f32 v44, v44, v112 :: v_dual_add_f32 v11, v69, v11
	v_dual_fmac_f32 v43, v78, v7 :: v_dual_fmac_f32 v48, v73, v1
	v_fma_f32 v78, v78, v6, -v13
	v_fma_f32 v73, v73, v0, -v14
	;; [unrolled: 1-line block ×4, first 2 shown]
	s_waitcnt vmcnt(9)
	v_dual_mul_f32 v71, v20, v114 :: v_dual_add_f32 v46, v46, v52
	s_waitcnt lgkmcnt(5)
	v_mul_f32_e32 v76, v22, v121
	s_waitcnt vmcnt(8) lgkmcnt(4)
	v_dual_mul_f32 v141, v18, v123 :: v_dual_mul_f32 v142, v16, v118
	v_dual_mul_f32 v5, v23, v121 :: v_dual_mul_f32 v6, v17, v118
	v_mul_f32_e32 v7, v21, v114
	v_dual_mul_f32 v13, v19, v123 :: v_dual_add_f32 v14, v45, v44
	v_sub_f32_e32 v77, v9, v8
	v_fma_f32 v1, -0.5, v107, v112
	v_dual_add_f32 v52, v109, v115 :: v_dual_add_f32 v107, v135, v136
	v_fma_f32 v0, -0.5, v119, v69
	v_fma_f32 v3, -0.5, v137, v112
	v_dual_add_f32 v109, v138, v139 :: v_dual_sub_f32 v112, v4, v78
	v_fma_f32 v2, -0.5, v140, v69
	v_dual_add_f32 v9, v11, v9 :: v_dual_sub_f32 v118, v12, v47
	v_dual_sub_f32 v11, v12, v43 :: v_dual_sub_f32 v114, v42, v73
	v_dual_sub_f32 v15, v47, v48 :: v_dual_add_f32 v138, v4, v42
	v_dual_sub_f32 v44, v78, v73 :: v_dual_sub_f32 v45, v4, v42
	v_sub_f32_e32 v136, v78, v4
	v_dual_add_f32 v69, v43, v48 :: v_dual_fmac_f32 v76, v65, v23
	v_dual_add_f32 v115, v78, v73 :: v_dual_add_f32 v140, v68, v4
	v_dual_sub_f32 v119, v43, v48 :: v_dual_fmac_f32 v142, v72, v17
	v_sub_f32_e32 v121, v43, v12
	v_sub_f32_e32 v123, v48, v47
	v_add_f32_e32 v135, v12, v47
	v_sub_f32_e32 v137, v73, v42
	v_fmac_f32_e32 v71, v70, v21
	v_fmac_f32_e32 v141, v67, v19
	v_fma_f32 v19, v65, v22, -v5
	v_fma_f32 v65, v72, v16, -v6
	v_fmamk_f32 v6, v134, 0x3f737871, v2
	v_fma_f32 v16, v70, v20, -v7
	v_fma_f32 v67, v67, v18, -v13
	s_waitcnt vmcnt(7) lgkmcnt(3)
	v_mul_f32_e32 v18, v36, v125
	v_dual_add_f32 v139, v12, v111 :: v_dual_fmamk_f32 v4, v133, 0xbf737871, v0
	v_mul_f32_e32 v70, v38, v120
	s_waitcnt vmcnt(6) lgkmcnt(2)
	v_dual_mul_f32 v72, v32, v127 :: v_dual_mul_f32 v143, v34, v122
	v_add_f32_e32 v8, v9, v8
	v_dual_mul_f32 v17, v37, v125 :: v_dual_fmac_f32 v2, 0xbf737871, v134
	v_mul_f32_e32 v20, v35, v122
	v_dual_mul_f32 v21, v39, v120 :: v_dual_fmac_f32 v0, 0x3f737871, v133
	v_dual_mul_f32 v22, v33, v127 :: v_dual_fmamk_f32 v5, v79, 0x3f737871, v1
	v_fmamk_f32 v7, v77, 0xbf737871, v3
	v_fmac_f32_e32 v3, 0x3f737871, v77
	v_add_f32_e32 v23, v116, v14
	v_fmac_f32_e32 v1, 0xbf737871, v79
	v_add_f32_e32 v116, v11, v15
	v_fma_f32 v15, -0.5, v69, v111
	v_add_f32_e32 v69, v112, v114
	v_fma_f32 v14, -0.5, v115, v68
	;; [unrolled: 2-line block ×4, first 2 shown]
	v_add_f32_e32 v68, v140, v78
	v_sub_f32_e32 v140, v65, v67
	v_dual_sub_f32 v78, v71, v76 :: v_dual_add_f32 v121, v76, v142
	v_fmac_f32_e32 v18, v63, v37
	v_dual_add_f32 v125, v19, v65 :: v_dual_sub_f32 v136, v76, v71
	v_dual_sub_f32 v127, v71, v141 :: v_dual_add_f32 v144, v16, v67
	v_add_f32_e32 v138, v71, v141
	v_add_f32_e32 v71, v71, v132
	v_dual_add_f32 v43, v43, v139 :: v_dual_fmac_f32 v72, v61, v33
	v_dual_sub_f32 v114, v141, v142 :: v_dual_sub_f32 v115, v19, v65
	v_sub_f32_e32 v120, v16, v67
	v_dual_sub_f32 v122, v16, v19 :: v_dual_sub_f32 v123, v67, v65
	s_waitcnt vmcnt(5) lgkmcnt(1)
	v_dual_sub_f32 v135, v76, v142 :: v_dual_mul_f32 v146, v30, v129
	v_dual_sub_f32 v137, v142, v141 :: v_dual_fmac_f32 v70, v64, v39
	s_waitcnt vmcnt(4)
	v_dual_sub_f32 v139, v19, v16 :: v_dual_mul_f32 v148, v24, v126
	v_add_f32_e32 v145, v90, v16
	v_fmac_f32_e32 v143, v66, v35
	v_fma_f32 v33, v63, v36, -v17
	v_fma_f32 v39, v66, v34, -v20
	v_mul_f32_e32 v66, v28, v124
	v_fma_f32 v34, v64, v38, -v21
	v_fma_f32 v61, v61, v32, -v22
	s_waitcnt lgkmcnt(0)
	v_dual_mul_f32 v147, v26, v131 :: v_dual_mul_f32 v32, v29, v124
	v_dual_mul_f32 v64, v25, v126 :: v_dual_fmac_f32 v5, 0x3f167918, v77
	v_dual_add_f32 v8, v10, v8 :: v_dual_fmac_f32 v7, 0x3f167918, v79
	v_fmac_f32_e32 v2, 0x3f167918, v133
	v_dual_fmac_f32 v6, 0xbf167918, v133 :: v_dual_fmac_f32 v3, 0xbf167918, v79
	v_dual_add_f32 v9, v81, v23 :: v_dual_fmac_f32 v0, 0x3f167918, v134
	v_fmac_f32_e32 v1, 0xbf167918, v77
	v_fma_f32 v23, -0.5, v121, v132
	v_fma_f32 v22, -0.5, v125, v90
	;; [unrolled: 1-line block ×4, first 2 shown]
	v_dual_add_f32 v37, v76, v71 :: v_dual_add_f32 v132, v34, v61
	v_dual_add_f32 v133, v18, v88 :: v_dual_fmac_f32 v148, v60, v25
	v_dual_mul_f32 v63, v31, v129 :: v_dual_fmac_f32 v4, 0xbf167918, v134
	v_dual_mul_f32 v124, v27, v131 :: v_dual_fmamk_f32 v11, v45, 0x3f737871, v15
	v_fmamk_f32 v16, v119, 0x3f737871, v12
	v_dual_fmac_f32 v12, 0xbf737871, v119 :: v_dual_fmac_f32 v15, 0xbf737871, v45
	v_dual_add_f32 v35, v48, v43 :: v_dual_add_f32 v126, v70, v72
	v_dual_add_f32 v36, v68, v73 :: v_dual_add_f32 v77, v139, v140
	v_add_f32_e32 v48, v78, v114
	v_dual_add_f32 v68, v122, v123 :: v_dual_add_f32 v73, v136, v137
	v_dual_add_f32 v38, v145, v19 :: v_dual_sub_f32 v43, v70, v18
	v_dual_sub_f32 v71, v72, v143 :: v_dual_fmac_f32 v66, v62, v29
	v_dual_sub_f32 v76, v33, v39 :: v_dual_sub_f32 v79, v34, v61
	v_dual_add_f32 v78, v18, v143 :: v_dual_sub_f32 v125, v143, v72
	v_dual_sub_f32 v81, v34, v33 :: v_dual_sub_f32 v90, v61, v39
	v_dual_add_f32 v114, v33, v39 :: v_dual_sub_f32 v121, v70, v72
	v_dual_sub_f32 v122, v18, v143 :: v_dual_sub_f32 v129, v33, v34
	v_dual_sub_f32 v123, v18, v70 :: v_dual_fmac_f32 v146, v57, v31
	v_dual_add_f32 v33, v89, v33 :: v_dual_fmac_f32 v0, 0x3e9e377a, v52
	v_fma_f32 v134, v62, v28, -v32
	v_dual_fmac_f32 v5, 0x3e9e377a, v46 :: v_dual_fmac_f32 v6, 0x3e9e377a, v109
	v_fmac_f32_e32 v1, 0x3e9e377a, v46
	v_fmamk_f32 v29, v120, 0x3f737871, v23
	v_dual_fmamk_f32 v28, v127, 0xbf737871, v22 :: v_dual_fmac_f32 v23, 0xbf737871, v120
	v_dual_fmamk_f32 v32, v115, 0xbf737871, v21 :: v_dual_add_f32 v25, v142, v37
	v_dual_fmamk_f32 v31, v135, 0x3f737871, v20 :: v_dual_add_f32 v46, v70, v133
	v_dual_fmac_f32 v22, 0x3f737871, v127 :: v_dual_sub_f32 v131, v39, v61
	v_dual_fmac_f32 v4, 0x3e9e377a, v52 :: v_dual_fmac_f32 v3, 0x3e9e377a, v107
	v_add_f32_e32 v18, v42, v36
	v_dual_fmac_f32 v16, 0xbf167918, v118 :: v_dual_fmac_f32 v15, 0xbf167918, v44
	v_dual_add_f32 v19, v47, v35 :: v_dual_add_f32 v62, v81, v90
	v_fmac_f32_e32 v21, 0x3f737871, v115
	v_fmac_f32_e32 v20, 0xbf737871, v135
	v_add_f32_e32 v42, v38, v65
	v_add_f32_e32 v65, v123, v125
	v_dual_add_f32 v52, v43, v71 :: v_dual_add_f32 v47, v34, v33
	v_fma_f32 v36, -0.5, v78, v88
	v_fma_f32 v35, -0.5, v114, v89
	v_fmac_f32_e32 v22, 0x3f167918, v135
	v_dual_add_f32 v34, v141, v25 :: v_dual_add_f32 v25, v72, v46
	v_dual_fmac_f32 v15, 0x3e9e377a, v116 :: v_dual_add_f32 v46, v47, v61
	v_dual_fmac_f32 v29, 0x3f167918, v115 :: v_dual_fmac_f32 v32, 0x3f167918, v120
	v_dual_fmac_f32 v20, 0x3f167918, v127 :: v_dual_add_f32 v33, v67, v42
	s_delay_alu instid0(VALU_DEP_3)
	v_dual_fmamk_f32 v43, v79, 0xbf737871, v36 :: v_dual_add_f32 v46, v46, v39
	v_dual_fmamk_f32 v42, v121, 0x3f737871, v35 :: v_dual_add_f32 v47, v143, v25
	v_dual_fmac_f32 v36, 0x3f737871, v79 :: v_dual_add_f32 v25, v146, v148
	v_fmac_f32_e32 v23, 0xbf167918, v115
	v_dual_fmamk_f32 v10, v118, 0xbf737871, v14 :: v_dual_fmamk_f32 v17, v44, 0xbf737871, v13
	v_dual_fmac_f32 v13, 0x3f737871, v44 :: v_dual_fmac_f32 v14, 0x3f737871, v118
	v_fma_f32 v38, -0.5, v126, v88
	v_dual_fmac_f32 v29, 0x3e9e377a, v48 :: v_dual_fmac_f32 v32, 0x3e9e377a, v73
	v_fmac_f32_e32 v36, 0xbf167918, v76
	v_dual_fmac_f32 v20, 0x3e9e377a, v77 :: v_dual_fmac_f32 v23, 0x3e9e377a, v48
	ds_load_b32 v48, v85
	ds_load_b32 v70, v84
	v_dual_fmac_f32 v10, 0xbf167918, v119 :: v_dual_fmac_f32 v13, 0xbf167918, v45
	v_dual_fmac_f32 v17, 0x3f167918, v45 :: v_dual_fmac_f32 v14, 0x3f167918, v119
	v_fma_f32 v37, -0.5, v132, v89
	v_fma_f32 v39, v59, v26, -v124
	v_fmamk_f32 v45, v76, 0xbf737871, v38
	v_dual_fmac_f32 v38, 0x3f737871, v76 :: v_dual_fmac_f32 v147, v59, v27
	v_fma_f32 v30, v57, v30, -v63
	v_fma_f32 v57, v60, v24, -v64
	v_dual_fmac_f32 v11, 0x3f167918, v44 :: v_dual_fmac_f32 v12, 0x3f167918, v118
	v_dual_fmac_f32 v28, 0xbf167918, v135 :: v_dual_fmac_f32 v21, 0xbf167918, v120
	v_dual_fmamk_f32 v44, v122, 0x3f737871, v37 :: v_dual_sub_f32 v27, v147, v148
	v_dual_fmac_f32 v35, 0xbf737871, v121 :: v_dual_sub_f32 v24, v66, v146
	v_dual_fmac_f32 v37, 0xbf737871, v122 :: v_dual_add_f32 v26, v30, v57
	s_delay_alu instid0(VALU_DEP_3)
	v_dual_fmac_f32 v43, 0x3f167918, v76 :: v_dual_fmac_f32 v44, 0x3f167918, v121
	v_dual_fmac_f32 v31, 0xbf167918, v127 :: v_dual_fmac_f32 v42, 0xbf167918, v122
	v_dual_fmac_f32 v28, 0x3e9e377a, v68 :: v_dual_fmac_f32 v21, 0x3e9e377a, v73
	v_fmac_f32_e32 v22, 0x3e9e377a, v68
	v_dual_fmac_f32 v38, 0x3f167918, v79 :: v_dual_fmac_f32 v35, 0x3f167918, v122
	v_dual_fmac_f32 v37, 0xbf167918, v121 :: v_dual_sub_f32 v68, v66, v147
	v_dual_fmac_f32 v43, 0x3e9e377a, v52 :: v_dual_fmac_f32 v42, 0x3e9e377a, v62
	s_delay_alu instid0(VALU_DEP_3)
	v_dual_fmac_f32 v36, 0x3e9e377a, v52 :: v_dual_fmac_f32 v35, 0x3e9e377a, v62
	v_sub_f32_e32 v52, v134, v39
	v_fmac_f32_e32 v45, 0xbf167918, v79
	v_fma_f32 v59, -0.5, v26, v86
	v_sub_f32_e32 v26, v134, v30
	v_add_f32_e32 v61, v66, v147
	v_dual_add_f32 v71, v129, v131 :: v_dual_fmac_f32 v10, 0x3e9e377a, v69
	v_dual_fmac_f32 v13, 0x3e9e377a, v112 :: v_dual_fmac_f32 v14, 0x3e9e377a, v69
	s_delay_alu instid0(VALU_DEP_2)
	v_dual_fmac_f32 v45, 0x3e9e377a, v65 :: v_dual_fmac_f32 v44, 0x3e9e377a, v71
	v_dual_fmac_f32 v38, 0x3e9e377a, v65 :: v_dual_fmac_f32 v37, 0x3e9e377a, v71
	v_sub_f32_e32 v67, v30, v57
	v_dual_add_f32 v69, v24, v27 :: v_dual_sub_f32 v64, v146, v66
	v_dual_fmamk_f32 v24, v68, 0xbf737871, v59 :: v_dual_add_f32 v63, v134, v39
	s_waitcnt lgkmcnt(1)
	v_fma_f32 v62, -0.5, v61, v48
	v_sub_f32_e32 v65, v30, v134
	v_sub_f32_e32 v73, v57, v39
	v_fma_f32 v60, -0.5, v25, v48
	v_fma_f32 v61, -0.5, v63, v86
	v_add_f32_e32 v48, v66, v48
	v_fmac_f32_e32 v59, 0x3f737871, v68
	v_add_f32_e32 v73, v65, v73
	v_sub_f32_e32 v63, v148, v147
	v_sub_f32_e32 v71, v146, v148
	ds_load_2addr_b32 v[65:66], v87 offset0:131 offset1:186
	v_dual_add_f32 v48, v146, v48 :: v_dual_fmac_f32 v31, 0x3e9e377a, v77
	v_dual_add_f32 v76, v64, v63 :: v_dual_sub_f32 v27, v39, v57
	v_fmac_f32_e32 v24, 0xbf167918, v71
	v_fmamk_f32 v25, v52, 0x3f737871, v60
	s_delay_alu instid0(VALU_DEP_4) | instskip(NEXT) | instid1(VALU_DEP_4)
	v_dual_add_f32 v48, v148, v48 :: v_dual_add_nc_u32 v63, 0x400, v117
	v_dual_add_f32 v72, v26, v27 :: v_dual_fmamk_f32 v27, v67, 0xbf737871, v62
	s_delay_alu instid0(VALU_DEP_3)
	v_fmac_f32_e32 v25, 0x3f167918, v67
	v_fmac_f32_e32 v62, 0x3f737871, v67
	v_fmamk_f32 v26, v71, 0x3f737871, v61
	ds_load_2addr_b32 v[63:64], v63 offset0:129 offset1:184
	v_fmac_f32_e32 v27, 0x3f167918, v52
	v_fmac_f32_e32 v60, 0xbf737871, v52
	;; [unrolled: 1-line block ×3, first 2 shown]
	v_dual_add_f32 v52, v86, v134 :: v_dual_fmac_f32 v61, 0xbf737871, v71
	v_fmac_f32_e32 v26, 0xbf167918, v68
	v_fmac_f32_e32 v59, 0x3f167918, v71
	v_dual_fmac_f32 v25, 0x3e9e377a, v69 :: v_dual_fmac_f32 v24, 0x3e9e377a, v72
	s_delay_alu instid0(VALU_DEP_4) | instskip(NEXT) | instid1(VALU_DEP_4)
	v_dual_add_f32 v30, v52, v30 :: v_dual_fmac_f32 v61, 0x3f167918, v68
	v_fmac_f32_e32 v26, 0x3e9e377a, v73
	v_add_f32_e32 v52, v147, v48
	s_waitcnt vmcnt(0)
	v_mul_f32_e32 v48, v105, v128
	v_add_f32_e32 v30, v30, v57
	v_dual_fmac_f32 v62, 0x3e9e377a, v76 :: v_dual_fmac_f32 v61, 0x3e9e377a, v73
	s_waitcnt lgkmcnt(1)
	v_mul_f32_e32 v73, v99, v66
	v_mul_f32_e32 v66, v100, v66
	s_waitcnt lgkmcnt(0)
	v_dual_fmac_f32 v60, 0xbf167918, v67 :: v_dual_mul_f32 v71, v103, v64
	v_dual_fmac_f32 v59, 0x3e9e377a, v72 :: v_dual_fmac_f32 v48, v56, v106
	v_dual_fmac_f32 v73, v51, v100 :: v_dual_mul_f32 v72, v101, v130
	v_dual_mul_f32 v57, v104, v64 :: v_dual_mul_f32 v64, v102, v130
	v_fma_f32 v78, v51, v99, -v66
	v_mul_f32_e32 v67, v106, v128
	v_dual_fmac_f32 v27, 0x3e9e377a, v76 :: v_dual_fmac_f32 v60, 0x3e9e377a, v69
	v_dual_fmac_f32 v71, v55, v104 :: v_dual_fmac_f32 v72, v58, v102
	v_fma_f32 v76, v55, v103, -v57
	v_fma_f32 v64, v58, v101, -v64
	v_fma_f32 v77, v56, v105, -v67
	v_add_f32_e32 v55, v48, v73
	v_dual_add_f32 v51, v39, v30 :: v_dual_sub_f32 v86, v48, v71
	v_sub_f32_e32 v87, v73, v72
	s_delay_alu instid0(VALU_DEP_4) | instskip(NEXT) | instid1(VALU_DEP_4)
	v_dual_sub_f32 v79, v76, v64 :: v_dual_sub_f32 v30, v77, v78
	v_fma_f32 v56, -0.5, v55, v70
	v_add_f32_e32 v66, v77, v78
	s_delay_alu instid0(VALU_DEP_4) | instskip(SKIP_1) | instid1(VALU_DEP_4)
	v_dual_add_f32 v86, v86, v87 :: v_dual_sub_f32 v55, v72, v73
	v_dual_sub_f32 v81, v71, v72 :: v_dual_sub_f32 v84, v64, v78
	v_fmamk_f32 v58, v79, 0x3f737871, v56
	v_dual_sub_f32 v57, v71, v48 :: v_dual_sub_f32 v68, v76, v77
	v_dual_sub_f32 v85, v48, v73 :: v_dual_sub_f32 v88, v78, v64
	s_delay_alu instid0(VALU_DEP_2) | instskip(SKIP_3) | instid1(VALU_DEP_4)
	v_dual_fmac_f32 v58, 0x3f167918, v30 :: v_dual_add_f32 v39, v57, v55
	v_fma_f32 v55, -0.5, v66, v83
	v_add_f32_e32 v66, v71, v72
	v_add_f32_e32 v84, v68, v84
	v_dual_sub_f32 v87, v77, v76 :: v_dual_fmac_f32 v58, 0x3e9e377a, v39
	s_delay_alu instid0(VALU_DEP_4) | instskip(NEXT) | instid1(VALU_DEP_4)
	v_fmamk_f32 v57, v81, 0xbf737871, v55
	v_fma_f32 v67, -0.5, v66, v70
	v_add_f32_e32 v66, v76, v64
	v_add_f32_e32 v70, v71, v70
	;; [unrolled: 1-line block ×3, first 2 shown]
	v_fmac_f32_e32 v57, 0xbf167918, v85
	v_fmamk_f32 v69, v30, 0xbf737871, v67
	v_fma_f32 v66, -0.5, v66, v83
	v_dual_add_f32 v71, v83, v76 :: v_dual_add_f32 v48, v48, v70
	v_fmac_f32_e32 v56, 0xbf737871, v79
	s_delay_alu instid0(VALU_DEP_4) | instskip(NEXT) | instid1(VALU_DEP_4)
	v_fmac_f32_e32 v69, 0x3f167918, v79
	v_dual_fmamk_f32 v68, v85, 0x3f737871, v66 :: v_dual_fmac_f32 v67, 0x3f737871, v30
	s_delay_alu instid0(VALU_DEP_4) | instskip(SKIP_1) | instid1(VALU_DEP_4)
	v_add_f32_e32 v48, v73, v48
	v_fmac_f32_e32 v66, 0xbf737871, v85
	v_dual_fmac_f32 v69, 0x3e9e377a, v86 :: v_dual_add_f32 v70, v71, v77
	s_delay_alu instid0(VALU_DEP_4) | instskip(SKIP_1) | instid1(VALU_DEP_3)
	v_fmac_f32_e32 v68, 0xbf167918, v81
	v_dual_fmac_f32 v56, 0xbf167918, v30 :: v_dual_fmac_f32 v67, 0xbf167918, v79
	v_dual_add_f32 v71, v72, v48 :: v_dual_add_f32 v70, v70, v78
	v_dual_fmac_f32 v66, 0x3f167918, v81 :: v_dual_mul_f32 v79, v93, v110
	v_dual_mul_f32 v30, v95, v63 :: v_dual_fmac_f32 v55, 0x3f737871, v81
	v_mul_f32_e32 v78, v97, v108
	v_dual_fmac_f32 v56, 0x3e9e377a, v39 :: v_dual_mul_f32 v39, v91, v65
	s_delay_alu instid0(VALU_DEP_3) | instskip(SKIP_2) | instid1(VALU_DEP_4)
	v_dual_mul_f32 v65, v92, v65 :: v_dual_fmac_f32 v30, v54, v96
	v_dual_fmac_f32 v79, v53, v94 :: v_dual_mul_f32 v48, v96, v63
	v_mul_f32_e32 v63, v94, v110
	v_dual_fmac_f32 v39, v50, v92 :: v_dual_fmac_f32 v78, v49, v98
	v_dual_fmac_f32 v67, 0x3e9e377a, v86 :: v_dual_fmac_f32 v66, 0x3e9e377a, v87
	s_delay_alu instid0(VALU_DEP_3) | instskip(NEXT) | instid1(VALU_DEP_3)
	v_fma_f32 v83, v53, v93, -v63
	v_sub_f32_e32 v63, v79, v39
	s_delay_alu instid0(VALU_DEP_4)
	v_sub_f32_e32 v53, v30, v78
	v_fma_f32 v81, v54, v95, -v48
	v_add_f32_e32 v70, v64, v70
	v_dual_mul_f32 v64, v98, v108 :: v_dual_fmac_f32 v55, 0x3f167918, v85
	v_fma_f32 v50, v50, v91, -v65
	v_sub_f32_e32 v89, v78, v39
	v_add_f32_e32 v88, v53, v63
	s_delay_alu instid0(VALU_DEP_4) | instskip(SKIP_3) | instid1(VALU_DEP_4)
	v_fma_f32 v86, v49, v97, -v64
	v_add_f32_e32 v48, v78, v39
	v_dual_sub_f32 v85, v30, v79 :: v_dual_sub_f32 v64, v83, v50
	v_fmac_f32_e32 v55, 0x3e9e377a, v84
	v_sub_f32_e32 v63, v81, v86
	s_delay_alu instid0(VALU_DEP_4) | instskip(SKIP_2) | instid1(VALU_DEP_4)
	v_fma_f32 v49, -0.5, v48, v80
	v_dual_add_f32 v48, v86, v50 :: v_dual_sub_f32 v65, v81, v83
	v_dual_sub_f32 v72, v78, v30 :: v_dual_add_f32 v73, v81, v83
	v_add_f32_e32 v90, v63, v64
	s_delay_alu instid0(VALU_DEP_3) | instskip(SKIP_3) | instid1(VALU_DEP_4)
	v_fma_f32 v48, -0.5, v48, v82
	v_mul_hi_u32 v77, 0x551c979b, v113
	v_dual_fmac_f32 v57, 0x3e9e377a, v84 :: v_dual_fmac_f32 v68, 0x3e9e377a, v87
	v_dual_sub_f32 v87, v86, v50 :: v_dual_fmamk_f32 v54, v65, 0x3f737871, v49
	v_dual_fmamk_f32 v53, v85, 0xbf737871, v48 :: v_dual_sub_f32 v84, v86, v81
	v_dual_fmac_f32 v11, 0x3e9e377a, v116 :: v_dual_fmac_f32 v16, 0x3e9e377a, v111
	v_lshrrev_b32_e32 v77, 7, v77
	s_delay_alu instid0(VALU_DEP_3) | instskip(SKIP_1) | instid1(VALU_DEP_3)
	v_dual_fmac_f32 v53, 0xbf167918, v89 :: v_dual_sub_f32 v76, v39, v79
	v_dual_fmac_f32 v17, 0x3e9e377a, v112 :: v_dual_fmac_f32 v12, 0x3e9e377a, v111
	v_mul_u32_u24_e32 v77, 0x181, v77
	s_delay_alu instid0(VALU_DEP_3) | instskip(NEXT) | instid1(VALU_DEP_4)
	v_fmac_f32_e32 v53, 0x3e9e377a, v90
	v_dual_add_f32 v63, v30, v79 :: v_dual_add_f32 v76, v72, v76
	v_dual_add_f32 v30, v30, v80 :: v_dual_fmac_f32 v49, 0xbf737871, v65
	v_dual_fmac_f32 v7, 0x3e9e377a, v107 :: v_dual_fmac_f32 v2, 0x3e9e377a, v109
	s_delay_alu instid0(VALU_DEP_3) | instskip(SKIP_1) | instid1(VALU_DEP_4)
	v_fma_f32 v64, -0.5, v63, v80
	v_fma_f32 v63, -0.5, v73, v82
	v_dual_add_f32 v78, v78, v30 :: v_dual_fmac_f32 v49, 0xbf167918, v87
	s_delay_alu instid0(VALU_DEP_3) | instskip(SKIP_1) | instid1(VALU_DEP_3)
	v_fmamk_f32 v73, v87, 0xbf737871, v64
	v_fmac_f32_e32 v54, 0x3f167918, v87
	v_dual_fmac_f32 v64, 0x3f737871, v87 :: v_dual_add_f32 v39, v39, v78
	s_delay_alu instid0(VALU_DEP_3) | instskip(NEXT) | instid1(VALU_DEP_3)
	v_fmac_f32_e32 v73, 0x3f167918, v65
	v_dual_fmac_f32 v54, 0x3e9e377a, v88 :: v_dual_sub_f32 v91, v50, v83
	v_fmamk_f32 v72, v89, 0x3f737871, v63
	v_fmac_f32_e32 v63, 0xbf737871, v89
	v_fmac_f32_e32 v64, 0xbf167918, v65
	s_delay_alu instid0(VALU_DEP_4) | instskip(SKIP_3) | instid1(VALU_DEP_4)
	v_dual_add_f32 v65, v82, v81 :: v_dual_add_f32 v84, v84, v91
	v_fmac_f32_e32 v73, 0x3e9e377a, v76
	v_fmac_f32_e32 v72, 0xbf167918, v85
	v_sub_nc_u32_e32 v91, v113, v77
	v_dual_add_f32 v65, v65, v86 :: v_dual_fmac_f32 v64, 0x3e9e377a, v76
	s_delay_alu instid0(VALU_DEP_3) | instskip(NEXT) | instid1(VALU_DEP_3)
	v_dual_add_f32 v79, v79, v39 :: v_dual_fmac_f32 v72, 0x3e9e377a, v84
	v_mad_u64_u32 v[76:77], null, s12, v91, 0
	v_add_nc_u32_e32 v82, 0x181, v91
	v_fmac_f32_e32 v63, 0x3f167918, v85
	v_lshlrev_b64 v[39:40], 3, v[40:41]
	v_add_nc_u32_e32 v86, 55, v113
	s_delay_alu instid0(VALU_DEP_4) | instskip(NEXT) | instid1(VALU_DEP_4)
	v_mad_u64_u32 v[80:81], null, s12, v82, 0
	v_dual_mov_b32 v30, v77 :: v_dual_fmac_f32 v63, 0x3e9e377a, v84
	v_fmac_f32_e32 v48, 0x3f737871, v85
	v_add_nc_u32_e32 v85, 0x483, v91
	s_delay_alu instid0(VALU_DEP_3) | instskip(SKIP_2) | instid1(VALU_DEP_2)
	v_mad_u64_u32 v[77:78], null, s13, v91, v[30:31]
	v_add_f32_e32 v30, v65, v50
	v_mov_b32_e32 v41, v81
	v_dual_fmac_f32 v49, 0x3e9e377a, v88 :: v_dual_add_f32 v78, v83, v30
	v_add_co_u32 v30, vcc_lo, s6, v74
	v_add_co_ci_u32_e32 v50, vcc_lo, s7, v75, vcc_lo
	v_lshlrev_b64 v[74:75], 3, v[76:77]
	v_mad_u64_u32 v[76:77], null, s13, v82, v[41:42]
	v_mad_u64_u32 v[82:83], null, s12, v85, 0
	v_add_nc_u32_e32 v65, 0x302, v91
	v_mul_hi_u32 v77, 0x551c979b, v86
	v_add_co_u32 v30, vcc_lo, v30, v39
	v_add_co_ci_u32_e32 v39, vcc_lo, v50, v40, vcc_lo
	v_mov_b32_e32 v50, v83
	v_mad_u64_u32 v[40:41], null, s12, v65, 0
	v_lshrrev_b32_e32 v87, 7, v77
	v_dual_fmac_f32 v48, 0x3f167918, v89 :: v_dual_mov_b32 v81, v76
	s_delay_alu instid0(VALU_DEP_4) | instskip(SKIP_4) | instid1(VALU_DEP_2)
	v_mad_u64_u32 v[83:84], null, s13, v85, v[50:51]
	v_add_co_u32 v74, vcc_lo, v30, v74
	v_mad_u64_u32 v[76:77], null, s13, v65, v[41:42]
	v_mul_u32_u24_e32 v41, 0x181, v87
	v_add_co_ci_u32_e32 v75, vcc_lo, v39, v75, vcc_lo
	v_sub_nc_u32_e32 v50, v86, v41
	global_store_b64 v[74:75], v[78:79], off
	v_lshlrev_b64 v[74:75], 3, v[80:81]
	v_mov_b32_e32 v41, v76
	v_lshlrev_b64 v[78:79], 3, v[82:83]
	v_mad_u32_u24 v85, 0x785, v87, v50
	s_delay_alu instid0(VALU_DEP_3) | instskip(SKIP_1) | instid1(VALU_DEP_3)
	v_lshlrev_b64 v[40:41], 3, v[40:41]
	v_add_co_u32 v74, vcc_lo, v30, v74
	v_mad_u64_u32 v[80:81], null, s12, v85, 0
	v_add_nc_u32_e32 v65, 0x604, v91
	v_add_co_ci_u32_e32 v75, vcc_lo, v39, v75, vcc_lo
	v_add_co_u32 v40, vcc_lo, v30, v40
	s_delay_alu instid0(VALU_DEP_3) | instskip(SKIP_3) | instid1(VALU_DEP_4)
	v_mad_u64_u32 v[76:77], null, s12, v65, 0
	v_add_co_ci_u32_e32 v41, vcc_lo, v39, v41, vcc_lo
	v_add_co_u32 v78, vcc_lo, v30, v78
	v_add_co_ci_u32_e32 v79, vcc_lo, v39, v79, vcc_lo
	v_mov_b32_e32 v50, v77
	s_delay_alu instid0(VALU_DEP_1) | instskip(SKIP_1) | instid1(VALU_DEP_1)
	v_mad_u64_u32 v[82:83], null, s13, v65, v[50:51]
	v_mov_b32_e32 v50, v81
	v_mad_u64_u32 v[83:84], null, s13, v85, v[50:51]
	s_delay_alu instid0(VALU_DEP_3) | instskip(NEXT) | instid1(VALU_DEP_2)
	v_dual_fmac_f32 v48, 0x3e9e377a, v90 :: v_dual_mov_b32 v77, v82
	v_mov_b32_e32 v81, v83
	s_clause 0x2
	global_store_b64 v[74:75], v[48:49], off
	global_store_b64 v[40:41], v[63:64], off
	;; [unrolled: 1-line block ×3, first 2 shown]
	v_add_nc_u32_e32 v75, 0x302, v85
	v_add_nc_u32_e32 v74, 0x181, v85
	;; [unrolled: 1-line block ×3, first 2 shown]
	v_lshlrev_b64 v[40:41], 3, v[76:77]
	s_delay_alu instid0(VALU_DEP_4) | instskip(NEXT) | instid1(VALU_DEP_4)
	v_mad_u64_u32 v[63:64], null, s12, v75, 0
	v_mad_u64_u32 v[48:49], null, s12, v74, 0
	s_delay_alu instid0(VALU_DEP_4) | instskip(NEXT) | instid1(VALU_DEP_4)
	v_mul_hi_u32 v76, 0x551c979b, v78
	v_add_co_u32 v40, vcc_lo, v30, v40
	v_add_co_ci_u32_e32 v41, vcc_lo, v39, v41, vcc_lo
	v_mov_b32_e32 v50, v64
	v_lshlrev_b64 v[64:65], 3, v[80:81]
	v_lshrrev_b32_e32 v80, 7, v76
	global_store_b64 v[40:41], v[53:54], off
	v_mad_u64_u32 v[72:73], null, s13, v74, v[49:50]
	v_mad_u64_u32 v[73:74], null, s13, v75, v[50:51]
	v_add_nc_u32_e32 v79, 0x483, v85
	v_mul_u32_u24_e32 v50, 0x181, v80
	v_add_co_u32 v74, vcc_lo, v30, v64
	v_mov_b32_e32 v49, v72
	v_add_co_ci_u32_e32 v75, vcc_lo, v39, v65, vcc_lo
	v_mov_b32_e32 v64, v73
	v_mad_u64_u32 v[76:77], null, s12, v79, 0
	v_sub_nc_u32_e32 v53, v78, v50
	v_lshlrev_b64 v[40:41], 3, v[48:49]
	s_delay_alu instid0(VALU_DEP_4)
	v_lshlrev_b64 v[49:50], 3, v[63:64]
	v_add_nc_u32_e32 v73, 0x604, v85
	global_store_b64 v[74:75], v[70:71], off
	v_mad_u32_u24 v75, 0x785, v80, v53
	v_mov_b32_e32 v48, v77
	v_add_co_u32 v40, vcc_lo, v30, v40
	v_mad_u64_u32 v[63:64], null, s12, v73, 0
	s_delay_alu instid0(VALU_DEP_3) | instskip(SKIP_2) | instid1(VALU_DEP_4)
	v_mad_u64_u32 v[53:54], null, s13, v79, v[48:49]
	v_mad_u64_u32 v[70:71], null, s12, v75, 0
	v_add_co_ci_u32_e32 v41, vcc_lo, v39, v41, vcc_lo
	v_mov_b32_e32 v48, v64
	v_add_co_u32 v49, vcc_lo, v30, v49
	v_mov_b32_e32 v77, v53
	v_mov_b32_e32 v53, v71
	v_add_co_ci_u32_e32 v50, vcc_lo, v39, v50, vcc_lo
	s_delay_alu instid0(VALU_DEP_4) | instskip(NEXT) | instid1(VALU_DEP_3)
	v_mad_u64_u32 v[71:72], null, s13, v73, v[48:49]
	v_mad_u64_u32 v[72:73], null, s13, v75, v[53:54]
	v_lshlrev_b64 v[64:65], 3, v[76:77]
	v_add_nc_u32_e32 v76, 0x181, v75
	s_clause 0x1
	global_store_b64 v[40:41], v[55:56], off
	global_store_b64 v[49:50], v[66:67], off
	v_add_co_u32 v53, vcc_lo, v30, v64
	v_dual_mov_b32 v64, v71 :: v_dual_mov_b32 v71, v72
	v_mad_u64_u32 v[73:74], null, s12, v76, 0
	v_add_co_ci_u32_e32 v54, vcc_lo, v39, v65, vcc_lo
	v_add_nc_u32_e32 v65, 0xa5, v113
	s_delay_alu instid0(VALU_DEP_4) | instskip(SKIP_2) | instid1(VALU_DEP_4)
	v_lshlrev_b64 v[49:50], 3, v[70:71]
	v_lshlrev_b64 v[40:41], 3, v[63:64]
	v_dual_mov_b32 v48, v74 :: v_dual_add_nc_u32 v63, 0x302, v75
	v_mul_hi_u32 v56, 0x551c979b, v65
	global_store_b64 v[53:54], v[68:69], off
	v_add_co_u32 v40, vcc_lo, v30, v40
	v_mad_u64_u32 v[53:54], null, s13, v76, v[48:49]
	v_mad_u64_u32 v[54:55], null, s12, v63, 0
	v_lshrrev_b32_e32 v66, 7, v56
	v_add_co_ci_u32_e32 v41, vcc_lo, v39, v41, vcc_lo
	v_add_co_u32 v48, vcc_lo, v30, v49
	v_add_co_ci_u32_e32 v49, vcc_lo, v39, v50, vcc_lo
	v_mov_b32_e32 v50, v55
	v_dual_mov_b32 v74, v53 :: v_dual_add_nc_u32 v53, 0x483, v75
	v_mul_u32_u24_e32 v67, 0x181, v66
	global_store_b64 v[40:41], v[57:58], off
	v_mad_u64_u32 v[55:56], null, s13, v63, v[50:51]
	v_mad_u64_u32 v[63:64], null, s12, v53, 0
	v_sub_nc_u32_e32 v50, v65, v67
	v_add_nc_u32_e32 v58, 0x604, v75
	global_store_b64 v[48:49], v[51:52], off
	v_lshlrev_b64 v[40:41], 3, v[73:74]
	v_mad_u32_u24 v65, 0x785, v66, v50
	v_mad_u64_u32 v[49:50], null, s12, v58, 0
	v_mov_b32_e32 v48, v64
	s_delay_alu instid0(VALU_DEP_4) | instskip(NEXT) | instid1(VALU_DEP_4)
	v_add_co_u32 v40, vcc_lo, v30, v40
	v_mad_u64_u32 v[51:52], null, s12, v65, 0
	v_add_nc_u32_e32 v66, 0x181, v65
	s_delay_alu instid0(VALU_DEP_4)
	v_mad_u64_u32 v[56:57], null, s13, v53, v[48:49]
	v_mov_b32_e32 v48, v50
	v_lshlrev_b64 v[53:54], 3, v[54:55]
	v_add_co_ci_u32_e32 v41, vcc_lo, v39, v41, vcc_lo
	v_mov_b32_e32 v50, v52
	v_mov_b32_e32 v64, v56
	v_mad_u64_u32 v[55:56], null, s13, v58, v[48:49]
	s_delay_alu instid0(VALU_DEP_3) | instskip(SKIP_2) | instid1(VALU_DEP_4)
	v_mad_u64_u32 v[56:57], null, s13, v65, v[50:51]
	v_mad_u64_u32 v[57:58], null, s12, v66, 0
	v_add_co_u32 v52, vcc_lo, v30, v53
	v_mov_b32_e32 v50, v55
	v_add_co_ci_u32_e32 v53, vcc_lo, v39, v54, vcc_lo
	global_store_b64 v[40:41], v[59:60], off
	v_lshlrev_b64 v[40:41], 3, v[63:64]
	v_lshlrev_b64 v[49:50], 3, v[49:50]
	v_mov_b32_e32 v48, v58
	global_store_b64 v[52:53], v[61:62], off
	v_dual_mov_b32 v52, v56 :: v_dual_add_nc_u32 v59, 0x302, v65
	v_add_co_u32 v40, vcc_lo, v30, v40
	v_mad_u64_u32 v[53:54], null, s13, v66, v[48:49]
	s_delay_alu instid0(VALU_DEP_3) | instskip(NEXT) | instid1(VALU_DEP_4)
	v_lshlrev_b64 v[51:52], 3, v[51:52]
	v_mad_u64_u32 v[54:55], null, s12, v59, 0
	v_add_co_ci_u32_e32 v41, vcc_lo, v39, v41, vcc_lo
	v_add_co_u32 v48, vcc_lo, v30, v49
	v_add_co_ci_u32_e32 v49, vcc_lo, v39, v50, vcc_lo
	v_add_co_u32 v50, vcc_lo, v30, v51
	v_add_co_ci_u32_e32 v51, vcc_lo, v39, v52, vcc_lo
	v_dual_mov_b32 v52, v55 :: v_dual_add_nc_u32 v61, 0xdc, v113
	v_add_nc_u32_e32 v62, 0x483, v65
	v_mov_b32_e32 v58, v53
	s_clause 0x2
	global_store_b64 v[40:41], v[26:27], off
	global_store_b64 v[48:49], v[24:25], off
	;; [unrolled: 1-line block ×3, first 2 shown]
	v_mad_u64_u32 v[55:56], null, s13, v59, v[52:53]
	v_add_nc_u32_e32 v56, 0x604, v65
	v_mul_hi_u32 v63, 0x551c979b, v61
	v_mad_u64_u32 v[52:53], null, s12, v62, 0
	v_lshlrev_b64 v[24:25], 3, v[57:58]
	s_delay_alu instid0(VALU_DEP_4) | instskip(NEXT) | instid1(VALU_DEP_4)
	v_mad_u64_u32 v[59:60], null, s12, v56, 0
	v_lshrrev_b32_e32 v48, 7, v63
	s_delay_alu instid0(VALU_DEP_4) | instskip(NEXT) | instid1(VALU_DEP_4)
	v_mov_b32_e32 v26, v53
	v_add_co_u32 v24, vcc_lo, v30, v24
	s_delay_alu instid0(VALU_DEP_4) | instskip(NEXT) | instid1(VALU_DEP_4)
	v_mov_b32_e32 v27, v60
	v_mul_u32_u24_e32 v49, 0x181, v48
	v_add_co_ci_u32_e32 v25, vcc_lo, v39, v25, vcc_lo
	s_delay_alu instid0(VALU_DEP_3) | instskip(NEXT) | instid1(VALU_DEP_3)
	v_mad_u64_u32 v[40:41], null, s13, v62, v[26:27]
	v_sub_nc_u32_e32 v26, v61, v49
	v_mad_u64_u32 v[46:47], null, s13, v56, v[27:28]
	s_delay_alu instid0(VALU_DEP_2) | instskip(SKIP_1) | instid1(VALU_DEP_3)
	v_mad_u32_u24 v56, 0x785, v48, v26
	v_lshlrev_b64 v[26:27], 3, v[54:55]
	v_dual_mov_b32 v53, v40 :: v_dual_mov_b32 v60, v46
	s_delay_alu instid0(VALU_DEP_3) | instskip(SKIP_1) | instid1(VALU_DEP_3)
	v_add_nc_u32_e32 v55, 0x181, v56
	v_mad_u64_u32 v[40:41], null, s12, v56, 0
	v_lshlrev_b64 v[46:47], 3, v[52:53]
	v_add_co_u32 v26, vcc_lo, v30, v26
	s_delay_alu instid0(VALU_DEP_4)
	v_mad_u64_u32 v[50:51], null, s12, v55, 0
	v_lshlrev_b64 v[48:49], 3, v[59:60]
	v_add_co_ci_u32_e32 v27, vcc_lo, v39, v27, vcc_lo
	v_mad_u64_u32 v[52:53], null, s13, v56, v[41:42]
	v_add_co_u32 v46, vcc_lo, v30, v46
	v_add_co_ci_u32_e32 v47, vcc_lo, v39, v47, vcc_lo
	v_mov_b32_e32 v41, v51
	v_add_co_u32 v48, vcc_lo, v30, v48
	v_add_co_ci_u32_e32 v49, vcc_lo, v39, v49, vcc_lo
	s_delay_alu instid0(VALU_DEP_3)
	v_mad_u64_u32 v[53:54], null, s13, v55, v[41:42]
	v_mov_b32_e32 v41, v52
	s_clause 0x3
	global_store_b64 v[24:25], v[44:45], off
	global_store_b64 v[26:27], v[35:36], off
	;; [unrolled: 1-line block ×4, first 2 shown]
	v_add_nc_u32_e32 v42, 0x302, v56
	v_add_nc_u32_e32 v46, 0x113, v113
	;; [unrolled: 1-line block ×3, first 2 shown]
	v_lshlrev_b64 v[24:25], 3, v[40:41]
	v_mov_b32_e32 v51, v53
	v_mad_u64_u32 v[26:27], null, s12, v42, 0
	v_mul_hi_u32 v40, 0x551c979b, v46
	v_mad_u64_u32 v[35:36], null, s12, v45, 0
	s_delay_alu instid0(VALU_DEP_4)
	v_lshlrev_b64 v[37:38], 3, v[50:51]
	v_add_nc_u32_e32 v47, 0x604, v56
	v_add_co_u32 v24, vcc_lo, v30, v24
	v_add_co_ci_u32_e32 v25, vcc_lo, v39, v25, vcc_lo
	v_lshrrev_b32_e32 v48, 7, v40
	v_mad_u64_u32 v[40:41], null, s13, v42, v[27:28]
	v_mov_b32_e32 v27, v36
	v_mad_u64_u32 v[41:42], null, s12, v47, 0
	v_add_co_u32 v36, vcc_lo, v30, v37
	s_delay_alu instid0(VALU_DEP_3)
	v_mad_u64_u32 v[43:44], null, s13, v45, v[27:28]
	v_mov_b32_e32 v27, v40
	v_add_co_ci_u32_e32 v37, vcc_lo, v39, v38, vcc_lo
	v_mul_u32_u24_e32 v49, 0x181, v48
	s_clause 0x1
	global_store_b64 v[24:25], v[33:34], off
	global_store_b64 v[36:37], v[22:23], off
	v_lshlrev_b64 v[23:24], 3, v[26:27]
	v_mov_b32_e32 v22, v42
	v_sub_nc_u32_e32 v38, v46, v49
	v_mov_b32_e32 v36, v43
	s_delay_alu instid0(VALU_DEP_3) | instskip(NEXT) | instid1(VALU_DEP_3)
	v_mad_u64_u32 v[25:26], null, s13, v47, v[22:23]
	v_mad_u32_u24 v44, 0x785, v48, v38
	s_delay_alu instid0(VALU_DEP_3) | instskip(SKIP_2) | instid1(VALU_DEP_4)
	v_lshlrev_b64 v[33:34], 3, v[35:36]
	v_add_co_u32 v22, vcc_lo, v30, v23
	v_add_co_ci_u32_e32 v23, vcc_lo, v39, v24, vcc_lo
	v_add_nc_u32_e32 v43, 0x181, v44
	v_mad_u64_u32 v[26:27], null, s12, v44, 0
	v_mov_b32_e32 v42, v25
	v_add_co_u32 v33, vcc_lo, v30, v33
	s_delay_alu instid0(VALU_DEP_4) | instskip(NEXT) | instid1(VALU_DEP_3)
	v_mad_u64_u32 v[35:36], null, s12, v43, 0
	v_lshlrev_b64 v[37:38], 3, v[41:42]
	v_mov_b32_e32 v24, v27
	v_add_co_ci_u32_e32 v34, vcc_lo, v39, v34, vcc_lo
	s_clause 0x1
	global_store_b64 v[22:23], v[20:21], off
	global_store_b64 v[33:34], v[31:32], off
	v_mov_b32_e32 v20, v36
	v_add_co_u32 v21, vcc_lo, v30, v37
	v_mad_u64_u32 v[40:41], null, s13, v44, v[24:25]
	v_add_co_ci_u32_e32 v22, vcc_lo, v39, v38, vcc_lo
	s_delay_alu instid0(VALU_DEP_3) | instskip(SKIP_1) | instid1(VALU_DEP_4)
	v_mad_u64_u32 v[23:24], null, s13, v43, v[20:21]
	v_add_nc_u32_e32 v33, 0x302, v44
	v_dual_mov_b32 v27, v40 :: v_dual_add_nc_u32 v34, 0x483, v44
	global_store_b64 v[21:22], v[28:29], off
	v_mad_u64_u32 v[24:25], null, s12, v33, 0
	v_mov_b32_e32 v36, v23
	v_lshlrev_b64 v[20:21], 3, v[26:27]
	v_mad_u64_u32 v[26:27], null, s12, v34, 0
	s_delay_alu instid0(VALU_DEP_3) | instskip(SKIP_4) | instid1(VALU_DEP_4)
	v_lshlrev_b64 v[28:29], 3, v[35:36]
	v_dual_mov_b32 v22, v25 :: v_dual_add_nc_u32 v35, 0x14a, v113
	v_add_nc_u32_e32 v36, 0x604, v44
	v_add_co_u32 v20, vcc_lo, v30, v20
	v_mov_b32_e32 v23, v27
	v_mul_hi_u32 v25, 0x551c979b, v35
	v_add_co_ci_u32_e32 v21, vcc_lo, v39, v21, vcc_lo
	v_add_co_u32 v28, vcc_lo, v30, v28
	s_delay_alu instid0(VALU_DEP_4)
	v_mad_u64_u32 v[31:32], null, s13, v33, v[22:23]
	v_mad_u64_u32 v[32:33], null, s13, v34, v[23:24]
	;; [unrolled: 1-line block ×3, first 2 shown]
	v_add_co_ci_u32_e32 v29, vcc_lo, v39, v29, vcc_lo
	v_lshrrev_b32_e32 v33, 7, v25
	global_store_b64 v[20:21], v[18:19], off
	v_mov_b32_e32 v25, v31
	global_store_b64 v[28:29], v[14:15], off
	v_mov_b32_e32 v14, v23
	v_mul_u32_u24_e32 v15, 0x181, v33
	v_mov_b32_e32 v27, v32
	v_lshlrev_b64 v[18:19], 3, v[24:25]
	s_delay_alu instid0(VALU_DEP_3) | instskip(SKIP_1) | instid1(VALU_DEP_4)
	v_mad_u64_u32 v[23:24], null, s13, v36, v[14:15]
	v_sub_nc_u32_e32 v24, v35, v15
	v_lshlrev_b64 v[20:21], 3, v[26:27]
	s_delay_alu instid0(VALU_DEP_4) | instskip(SKIP_1) | instid1(VALU_DEP_4)
	v_add_co_u32 v14, vcc_lo, v30, v18
	v_add_co_ci_u32_e32 v15, vcc_lo, v39, v19, vcc_lo
	v_mad_u32_u24 v25, 0x785, v33, v24
	s_delay_alu instid0(VALU_DEP_4) | instskip(SKIP_1) | instid1(VALU_DEP_3)
	v_add_co_u32 v18, vcc_lo, v30, v20
	v_add_co_ci_u32_e32 v19, vcc_lo, v39, v21, vcc_lo
	v_mad_u64_u32 v[20:21], null, s12, v25, 0
	v_add_nc_u32_e32 v26, 0x302, v25
	global_store_b64 v[14:15], v[12:13], off
	v_add_nc_u32_e32 v24, 0x181, v25
	global_store_b64 v[18:19], v[16:17], off
	v_lshlrev_b64 v[12:13], 3, v[22:23]
	v_mad_u64_u32 v[17:18], null, s12, v26, 0
	v_mov_b32_e32 v16, v21
	v_mad_u64_u32 v[14:15], null, s12, v24, 0
	s_delay_alu instid0(VALU_DEP_4) | instskip(SKIP_1) | instid1(VALU_DEP_4)
	v_add_co_u32 v12, vcc_lo, v30, v12
	v_add_nc_u32_e32 v27, 0x604, v25
	v_mad_u64_u32 v[21:22], null, s13, v25, v[16:17]
	v_add_nc_u32_e32 v16, 0x483, v25
	v_add_co_ci_u32_e32 v13, vcc_lo, v39, v13, vcc_lo
	s_delay_alu instid0(VALU_DEP_2)
	v_mad_u64_u32 v[22:23], null, s13, v24, v[15:16]
	v_mov_b32_e32 v15, v18
	v_mad_u64_u32 v[23:24], null, s12, v16, 0
	global_store_b64 v[12:13], v[10:11], off
	v_lshlrev_b64 v[11:12], 3, v[20:21]
	v_mad_u64_u32 v[18:19], null, s13, v26, v[15:16]
	v_mov_b32_e32 v15, v22
	v_mad_u64_u32 v[25:26], null, s12, v27, 0
	v_mov_b32_e32 v10, v24
	s_delay_alu instid0(VALU_DEP_3) | instskip(NEXT) | instid1(VALU_DEP_2)
	v_lshlrev_b64 v[13:14], 3, v[14:15]
	v_mad_u64_u32 v[19:20], null, s13, v16, v[10:11]
	s_delay_alu instid0(VALU_DEP_4) | instskip(SKIP_3) | instid1(VALU_DEP_3)
	v_mov_b32_e32 v10, v26
	v_add_co_u32 v11, vcc_lo, v30, v11
	v_add_co_ci_u32_e32 v12, vcc_lo, v39, v12, vcc_lo
	v_add_co_u32 v13, vcc_lo, v30, v13
	v_mad_u64_u32 v[15:16], null, s13, v27, v[10:11]
	v_mov_b32_e32 v24, v19
	v_lshlrev_b64 v[16:17], 3, v[17:18]
	v_add_co_ci_u32_e32 v14, vcc_lo, v39, v14, vcc_lo
	s_delay_alu instid0(VALU_DEP_3) | instskip(SKIP_1) | instid1(VALU_DEP_4)
	v_lshlrev_b64 v[18:19], 3, v[23:24]
	v_mov_b32_e32 v26, v15
	v_add_co_u32 v15, vcc_lo, v30, v16
	v_add_co_ci_u32_e32 v16, vcc_lo, v39, v17, vcc_lo
	s_delay_alu instid0(VALU_DEP_3) | instskip(SKIP_2) | instid1(VALU_DEP_3)
	v_lshlrev_b64 v[20:21], 3, v[25:26]
	v_add_co_u32 v17, vcc_lo, v30, v18
	v_add_co_ci_u32_e32 v18, vcc_lo, v39, v19, vcc_lo
	v_add_co_u32 v19, vcc_lo, v30, v20
	s_delay_alu instid0(VALU_DEP_4)
	v_add_co_ci_u32_e32 v20, vcc_lo, v39, v21, vcc_lo
	s_clause 0x4
	global_store_b64 v[11:12], v[8:9], off
	global_store_b64 v[13:14], v[0:1], off
	;; [unrolled: 1-line block ×5, first 2 shown]
.LBB0_23:
	s_nop 0
	s_sendmsg sendmsg(MSG_DEALLOC_VGPRS)
	s_endpgm
	.section	.rodata,"a",@progbits
	.p2align	6, 0x0
	.amdhsa_kernel fft_rtc_fwd_len1925_factors_7_11_5_5_wgs_55_tpt_55_halfLds_sp_op_CI_CI_sbrr_dirReg
		.amdhsa_group_segment_fixed_size 0
		.amdhsa_private_segment_fixed_size 0
		.amdhsa_kernarg_size 104
		.amdhsa_user_sgpr_count 15
		.amdhsa_user_sgpr_dispatch_ptr 0
		.amdhsa_user_sgpr_queue_ptr 0
		.amdhsa_user_sgpr_kernarg_segment_ptr 1
		.amdhsa_user_sgpr_dispatch_id 0
		.amdhsa_user_sgpr_private_segment_size 0
		.amdhsa_wavefront_size32 1
		.amdhsa_uses_dynamic_stack 0
		.amdhsa_enable_private_segment 0
		.amdhsa_system_sgpr_workgroup_id_x 1
		.amdhsa_system_sgpr_workgroup_id_y 0
		.amdhsa_system_sgpr_workgroup_id_z 0
		.amdhsa_system_sgpr_workgroup_info 0
		.amdhsa_system_vgpr_workitem_id 0
		.amdhsa_next_free_vgpr 207
		.amdhsa_next_free_sgpr 31
		.amdhsa_reserve_vcc 1
		.amdhsa_float_round_mode_32 0
		.amdhsa_float_round_mode_16_64 0
		.amdhsa_float_denorm_mode_32 3
		.amdhsa_float_denorm_mode_16_64 3
		.amdhsa_dx10_clamp 1
		.amdhsa_ieee_mode 1
		.amdhsa_fp16_overflow 0
		.amdhsa_workgroup_processor_mode 1
		.amdhsa_memory_ordered 1
		.amdhsa_forward_progress 0
		.amdhsa_shared_vgpr_count 0
		.amdhsa_exception_fp_ieee_invalid_op 0
		.amdhsa_exception_fp_denorm_src 0
		.amdhsa_exception_fp_ieee_div_zero 0
		.amdhsa_exception_fp_ieee_overflow 0
		.amdhsa_exception_fp_ieee_underflow 0
		.amdhsa_exception_fp_ieee_inexact 0
		.amdhsa_exception_int_div_zero 0
	.end_amdhsa_kernel
	.text
.Lfunc_end0:
	.size	fft_rtc_fwd_len1925_factors_7_11_5_5_wgs_55_tpt_55_halfLds_sp_op_CI_CI_sbrr_dirReg, .Lfunc_end0-fft_rtc_fwd_len1925_factors_7_11_5_5_wgs_55_tpt_55_halfLds_sp_op_CI_CI_sbrr_dirReg
                                        ; -- End function
	.section	.AMDGPU.csdata,"",@progbits
; Kernel info:
; codeLenInByte = 29000
; NumSgprs: 33
; NumVgprs: 207
; ScratchSize: 0
; MemoryBound: 0
; FloatMode: 240
; IeeeMode: 1
; LDSByteSize: 0 bytes/workgroup (compile time only)
; SGPRBlocks: 4
; VGPRBlocks: 25
; NumSGPRsForWavesPerEU: 33
; NumVGPRsForWavesPerEU: 207
; Occupancy: 7
; WaveLimiterHint : 1
; COMPUTE_PGM_RSRC2:SCRATCH_EN: 0
; COMPUTE_PGM_RSRC2:USER_SGPR: 15
; COMPUTE_PGM_RSRC2:TRAP_HANDLER: 0
; COMPUTE_PGM_RSRC2:TGID_X_EN: 1
; COMPUTE_PGM_RSRC2:TGID_Y_EN: 0
; COMPUTE_PGM_RSRC2:TGID_Z_EN: 0
; COMPUTE_PGM_RSRC2:TIDIG_COMP_CNT: 0
	.text
	.p2alignl 7, 3214868480
	.fill 96, 4, 3214868480
	.type	__hip_cuid_180d7449fb239818,@object ; @__hip_cuid_180d7449fb239818
	.section	.bss,"aw",@nobits
	.globl	__hip_cuid_180d7449fb239818
__hip_cuid_180d7449fb239818:
	.byte	0                               ; 0x0
	.size	__hip_cuid_180d7449fb239818, 1

	.ident	"AMD clang version 19.0.0git (https://github.com/RadeonOpenCompute/llvm-project roc-6.4.0 25133 c7fe45cf4b819c5991fe208aaa96edf142730f1d)"
	.section	".note.GNU-stack","",@progbits
	.addrsig
	.addrsig_sym __hip_cuid_180d7449fb239818
	.amdgpu_metadata
---
amdhsa.kernels:
  - .args:
      - .actual_access:  read_only
        .address_space:  global
        .offset:         0
        .size:           8
        .value_kind:     global_buffer
      - .offset:         8
        .size:           8
        .value_kind:     by_value
      - .actual_access:  read_only
        .address_space:  global
        .offset:         16
        .size:           8
        .value_kind:     global_buffer
      - .actual_access:  read_only
        .address_space:  global
        .offset:         24
        .size:           8
        .value_kind:     global_buffer
      - .actual_access:  read_only
        .address_space:  global
        .offset:         32
        .size:           8
        .value_kind:     global_buffer
      - .offset:         40
        .size:           8
        .value_kind:     by_value
      - .actual_access:  read_only
        .address_space:  global
        .offset:         48
        .size:           8
        .value_kind:     global_buffer
      - .actual_access:  read_only
        .address_space:  global
        .offset:         56
        .size:           8
        .value_kind:     global_buffer
      - .offset:         64
        .size:           4
        .value_kind:     by_value
      - .actual_access:  read_only
        .address_space:  global
        .offset:         72
        .size:           8
        .value_kind:     global_buffer
      - .actual_access:  read_only
        .address_space:  global
        .offset:         80
        .size:           8
        .value_kind:     global_buffer
      - .actual_access:  read_only
        .address_space:  global
        .offset:         88
        .size:           8
        .value_kind:     global_buffer
      - .actual_access:  write_only
        .address_space:  global
        .offset:         96
        .size:           8
        .value_kind:     global_buffer
    .group_segment_fixed_size: 0
    .kernarg_segment_align: 8
    .kernarg_segment_size: 104
    .language:       OpenCL C
    .language_version:
      - 2
      - 0
    .max_flat_workgroup_size: 55
    .name:           fft_rtc_fwd_len1925_factors_7_11_5_5_wgs_55_tpt_55_halfLds_sp_op_CI_CI_sbrr_dirReg
    .private_segment_fixed_size: 0
    .sgpr_count:     33
    .sgpr_spill_count: 0
    .symbol:         fft_rtc_fwd_len1925_factors_7_11_5_5_wgs_55_tpt_55_halfLds_sp_op_CI_CI_sbrr_dirReg.kd
    .uniform_work_group_size: 1
    .uses_dynamic_stack: false
    .vgpr_count:     207
    .vgpr_spill_count: 0
    .wavefront_size: 32
    .workgroup_processor_mode: 1
amdhsa.target:   amdgcn-amd-amdhsa--gfx1100
amdhsa.version:
  - 1
  - 2
...

	.end_amdgpu_metadata
